;; amdgpu-corpus repo=ROCm/rocFFT kind=compiled arch=gfx906 opt=O3
	.text
	.amdgcn_target "amdgcn-amd-amdhsa--gfx906"
	.amdhsa_code_object_version 6
	.protected	fft_rtc_back_len680_factors_17_4_10_wgs_204_tpt_68_halfLds_half_op_CI_CI_unitstride_sbrr_R2C_dirReg ; -- Begin function fft_rtc_back_len680_factors_17_4_10_wgs_204_tpt_68_halfLds_half_op_CI_CI_unitstride_sbrr_R2C_dirReg
	.globl	fft_rtc_back_len680_factors_17_4_10_wgs_204_tpt_68_halfLds_half_op_CI_CI_unitstride_sbrr_R2C_dirReg
	.p2align	8
	.type	fft_rtc_back_len680_factors_17_4_10_wgs_204_tpt_68_halfLds_half_op_CI_CI_unitstride_sbrr_R2C_dirReg,@function
fft_rtc_back_len680_factors_17_4_10_wgs_204_tpt_68_halfLds_half_op_CI_CI_unitstride_sbrr_R2C_dirReg: ; @fft_rtc_back_len680_factors_17_4_10_wgs_204_tpt_68_halfLds_half_op_CI_CI_unitstride_sbrr_R2C_dirReg
; %bb.0:
	v_mul_u32_u24_e32 v1, 0x3c4, v0
	s_load_dwordx4 s[8:11], s[4:5], 0x58
	s_load_dwordx4 s[12:15], s[4:5], 0x0
	;; [unrolled: 1-line block ×3, first 2 shown]
	v_lshrrev_b32_e32 v1, 16, v1
	v_mad_u64_u32 v[8:9], s[0:1], s6, 3, v[1:2]
	v_mov_b32_e32 v10, 0
	s_waitcnt lgkmcnt(0)
	v_cmp_lt_u64_e64 s[0:1], s[14:15], 2
	v_mov_b32_e32 v6, 0
	v_mov_b32_e32 v9, v10
	;; [unrolled: 1-line block ×5, first 2 shown]
	s_and_b64 vcc, exec, s[0:1]
	v_mov_b32_e32 v2, v7
	v_mov_b32_e32 v4, v9
	s_cbranch_vccnz .LBB0_8
; %bb.1:
	s_load_dwordx2 s[0:1], s[4:5], 0x10
	s_add_u32 s2, s18, 8
	s_addc_u32 s3, s19, 0
	s_add_u32 s6, s16, 8
	s_addc_u32 s7, s17, 0
	v_mov_b32_e32 v6, 0
	s_waitcnt lgkmcnt(0)
	s_add_u32 s20, s0, 8
	v_mov_b32_e32 v7, 0
	v_mov_b32_e32 v1, v6
	;; [unrolled: 1-line block ×3, first 2 shown]
	s_addc_u32 s21, s1, 0
	s_mov_b64 s[22:23], 1
	v_mov_b32_e32 v2, v7
	v_mov_b32_e32 v12, v8
.LBB0_2:                                ; =>This Inner Loop Header: Depth=1
	s_load_dwordx2 s[24:25], s[20:21], 0x0
                                        ; implicit-def: $vgpr3_vgpr4
	s_waitcnt lgkmcnt(0)
	v_or_b32_e32 v11, s25, v13
	v_cmp_ne_u64_e32 vcc, 0, v[10:11]
	s_and_saveexec_b64 s[0:1], vcc
	s_xor_b64 s[26:27], exec, s[0:1]
	s_cbranch_execz .LBB0_4
; %bb.3:                                ;   in Loop: Header=BB0_2 Depth=1
	v_cvt_f32_u32_e32 v3, s24
	v_cvt_f32_u32_e32 v4, s25
	s_sub_u32 s0, 0, s24
	s_subb_u32 s1, 0, s25
	v_mac_f32_e32 v3, 0x4f800000, v4
	v_rcp_f32_e32 v3, v3
	v_mul_f32_e32 v3, 0x5f7ffffc, v3
	v_mul_f32_e32 v4, 0x2f800000, v3
	v_trunc_f32_e32 v4, v4
	v_mac_f32_e32 v3, 0xcf800000, v4
	v_cvt_u32_f32_e32 v4, v4
	v_cvt_u32_f32_e32 v3, v3
	v_mul_lo_u32 v5, s0, v4
	v_mul_hi_u32 v9, s0, v3
	v_mul_lo_u32 v14, s1, v3
	v_mul_lo_u32 v11, s0, v3
	v_add_u32_e32 v5, v9, v5
	v_add_u32_e32 v5, v5, v14
	v_mul_hi_u32 v9, v3, v11
	v_mul_lo_u32 v14, v3, v5
	v_mul_hi_u32 v16, v3, v5
	v_mul_hi_u32 v15, v4, v11
	v_mul_lo_u32 v11, v4, v11
	v_mul_hi_u32 v17, v4, v5
	v_add_co_u32_e32 v9, vcc, v9, v14
	v_addc_co_u32_e32 v14, vcc, 0, v16, vcc
	v_mul_lo_u32 v5, v4, v5
	v_add_co_u32_e32 v9, vcc, v9, v11
	v_addc_co_u32_e32 v9, vcc, v14, v15, vcc
	v_addc_co_u32_e32 v11, vcc, 0, v17, vcc
	v_add_co_u32_e32 v5, vcc, v9, v5
	v_addc_co_u32_e32 v9, vcc, 0, v11, vcc
	v_add_co_u32_e32 v3, vcc, v3, v5
	v_addc_co_u32_e32 v4, vcc, v4, v9, vcc
	v_mul_lo_u32 v5, s0, v4
	v_mul_hi_u32 v9, s0, v3
	v_mul_lo_u32 v11, s1, v3
	v_mul_lo_u32 v14, s0, v3
	v_add_u32_e32 v5, v9, v5
	v_add_u32_e32 v5, v5, v11
	v_mul_lo_u32 v15, v3, v5
	v_mul_hi_u32 v16, v3, v14
	v_mul_hi_u32 v17, v3, v5
	;; [unrolled: 1-line block ×3, first 2 shown]
	v_mul_lo_u32 v14, v4, v14
	v_mul_hi_u32 v9, v4, v5
	v_add_co_u32_e32 v15, vcc, v16, v15
	v_addc_co_u32_e32 v16, vcc, 0, v17, vcc
	v_mul_lo_u32 v5, v4, v5
	v_add_co_u32_e32 v14, vcc, v15, v14
	v_addc_co_u32_e32 v11, vcc, v16, v11, vcc
	v_addc_co_u32_e32 v9, vcc, 0, v9, vcc
	v_add_co_u32_e32 v5, vcc, v11, v5
	v_addc_co_u32_e32 v9, vcc, 0, v9, vcc
	v_add_co_u32_e32 v5, vcc, v3, v5
	v_addc_co_u32_e32 v9, vcc, v4, v9, vcc
	v_mad_u64_u32 v[3:4], s[0:1], v12, v9, 0
	v_mul_hi_u32 v11, v12, v5
	v_mad_u64_u32 v[14:15], s[0:1], v13, v9, 0
	v_add_co_u32_e32 v11, vcc, v11, v3
	v_addc_co_u32_e32 v16, vcc, 0, v4, vcc
	v_mad_u64_u32 v[3:4], s[0:1], v13, v5, 0
	v_add_co_u32_e32 v3, vcc, v11, v3
	v_addc_co_u32_e32 v3, vcc, v16, v4, vcc
	v_addc_co_u32_e32 v4, vcc, 0, v15, vcc
	v_add_co_u32_e32 v5, vcc, v3, v14
	v_addc_co_u32_e32 v9, vcc, 0, v4, vcc
	v_mul_lo_u32 v11, s25, v5
	v_mul_lo_u32 v14, s24, v9
	v_mad_u64_u32 v[3:4], s[0:1], s24, v5, 0
	v_add3_u32 v4, v4, v14, v11
	v_sub_u32_e32 v11, v13, v4
	v_mov_b32_e32 v14, s25
	v_sub_co_u32_e32 v3, vcc, v12, v3
	v_subb_co_u32_e64 v11, s[0:1], v11, v14, vcc
	v_subrev_co_u32_e64 v14, s[0:1], s24, v3
	v_subbrev_co_u32_e64 v11, s[0:1], 0, v11, s[0:1]
	v_cmp_le_u32_e64 s[0:1], s25, v11
	v_cndmask_b32_e64 v15, 0, -1, s[0:1]
	v_cmp_le_u32_e64 s[0:1], s24, v14
	v_cndmask_b32_e64 v14, 0, -1, s[0:1]
	v_cmp_eq_u32_e64 s[0:1], s25, v11
	v_cndmask_b32_e64 v11, v15, v14, s[0:1]
	v_add_co_u32_e64 v14, s[0:1], 2, v5
	v_addc_co_u32_e64 v15, s[0:1], 0, v9, s[0:1]
	v_add_co_u32_e64 v16, s[0:1], 1, v5
	v_addc_co_u32_e64 v17, s[0:1], 0, v9, s[0:1]
	v_subb_co_u32_e32 v4, vcc, v13, v4, vcc
	v_cmp_ne_u32_e64 s[0:1], 0, v11
	v_cmp_le_u32_e32 vcc, s25, v4
	v_cndmask_b32_e64 v11, v17, v15, s[0:1]
	v_cndmask_b32_e64 v15, 0, -1, vcc
	v_cmp_le_u32_e32 vcc, s24, v3
	v_cndmask_b32_e64 v3, 0, -1, vcc
	v_cmp_eq_u32_e32 vcc, s25, v4
	v_cndmask_b32_e32 v3, v15, v3, vcc
	v_cmp_ne_u32_e32 vcc, 0, v3
	v_cndmask_b32_e64 v3, v16, v14, s[0:1]
	v_cndmask_b32_e32 v4, v9, v11, vcc
	v_cndmask_b32_e32 v3, v5, v3, vcc
.LBB0_4:                                ;   in Loop: Header=BB0_2 Depth=1
	s_andn2_saveexec_b64 s[0:1], s[26:27]
	s_cbranch_execz .LBB0_6
; %bb.5:                                ;   in Loop: Header=BB0_2 Depth=1
	v_cvt_f32_u32_e32 v3, s24
	s_sub_i32 s26, 0, s24
	v_rcp_iflag_f32_e32 v3, v3
	v_mul_f32_e32 v3, 0x4f7ffffe, v3
	v_cvt_u32_f32_e32 v3, v3
	v_mul_lo_u32 v4, s26, v3
	v_mul_hi_u32 v4, v3, v4
	v_add_u32_e32 v3, v3, v4
	v_mul_hi_u32 v3, v12, v3
	v_mul_lo_u32 v4, v3, s24
	v_add_u32_e32 v5, 1, v3
	v_sub_u32_e32 v4, v12, v4
	v_subrev_u32_e32 v9, s24, v4
	v_cmp_le_u32_e32 vcc, s24, v4
	v_cndmask_b32_e32 v4, v4, v9, vcc
	v_cndmask_b32_e32 v3, v3, v5, vcc
	v_add_u32_e32 v5, 1, v3
	v_cmp_le_u32_e32 vcc, s24, v4
	v_cndmask_b32_e32 v3, v3, v5, vcc
	v_mov_b32_e32 v4, v10
.LBB0_6:                                ;   in Loop: Header=BB0_2 Depth=1
	s_or_b64 exec, exec, s[0:1]
	v_mul_lo_u32 v5, v4, s24
	v_mul_lo_u32 v9, v3, s25
	v_mad_u64_u32 v[14:15], s[0:1], v3, s24, 0
	s_load_dwordx2 s[0:1], s[6:7], 0x0
	s_load_dwordx2 s[24:25], s[2:3], 0x0
	v_add3_u32 v5, v15, v9, v5
	v_sub_co_u32_e32 v9, vcc, v12, v14
	v_subb_co_u32_e32 v5, vcc, v13, v5, vcc
	s_waitcnt lgkmcnt(0)
	v_mul_lo_u32 v11, s0, v5
	v_mul_lo_u32 v12, s1, v9
	v_mad_u64_u32 v[6:7], s[0:1], s0, v9, v[6:7]
	s_add_u32 s22, s22, 1
	s_addc_u32 s23, s23, 0
	s_add_u32 s2, s2, 8
	v_mul_lo_u32 v5, s24, v5
	v_mul_lo_u32 v13, s25, v9
	v_mad_u64_u32 v[1:2], s[0:1], s24, v9, v[1:2]
	v_add3_u32 v7, v12, v7, v11
	s_addc_u32 s3, s3, 0
	v_mov_b32_e32 v11, s14
	s_add_u32 s6, s6, 8
	v_mov_b32_e32 v12, s15
	s_addc_u32 s7, s7, 0
	v_cmp_ge_u64_e32 vcc, s[22:23], v[11:12]
	s_add_u32 s20, s20, 8
	v_add3_u32 v2, v13, v2, v5
	s_addc_u32 s21, s21, 0
	s_cbranch_vccnz .LBB0_8
; %bb.7:                                ;   in Loop: Header=BB0_2 Depth=1
	v_mov_b32_e32 v13, v4
	v_mov_b32_e32 v12, v3
	s_branch .LBB0_2
.LBB0_8:
	s_mov_b32 s2, 0xaaaaaaab
	s_load_dwordx2 s[0:1], s[4:5], 0x28
	v_mul_hi_u32 v5, v8, s2
	s_lshl_b64 s[6:7], s[14:15], 3
	s_add_u32 s2, s18, s6
	s_addc_u32 s3, s19, s7
	v_lshrrev_b32_e32 v5, 1, v5
	v_lshl_add_u32 v5, v5, 1, v5
	s_waitcnt lgkmcnt(0)
	v_cmp_gt_u64_e32 vcc, s[0:1], v[3:4]
	v_cmp_le_u64_e64 s[0:1], s[0:1], v[3:4]
	v_sub_u32_e32 v8, v8, v5
                                        ; implicit-def: $vgpr5
	s_and_saveexec_b64 s[4:5], s[0:1]
	s_xor_b64 s[0:1], exec, s[4:5]
; %bb.9:
	s_mov_b32 s4, 0x3c3c3c4
	v_mul_hi_u32 v5, v0, s4
                                        ; implicit-def: $vgpr6_vgpr7
	v_mul_u32_u24_e32 v5, 0x44, v5
	v_sub_u32_e32 v5, v0, v5
                                        ; implicit-def: $vgpr0
; %bb.10:
	s_or_saveexec_b64 s[4:5], s[0:1]
	v_mul_u32_u24_e32 v8, 0x2a9, v8
	v_lshlrev_b32_e32 v27, 2, v8
	s_xor_b64 exec, exec, s[4:5]
	s_cbranch_execz .LBB0_12
; %bb.11:
	s_add_u32 s0, s16, s6
	s_addc_u32 s1, s17, s7
	s_load_dwordx2 s[0:1], s[0:1], 0x0
	s_mov_b32 s6, 0x3c3c3c4
	v_mul_hi_u32 v5, v0, s6
	v_lshlrev_b64 v[6:7], 2, v[6:7]
	s_waitcnt lgkmcnt(0)
	v_mul_lo_u32 v10, s1, v3
	v_mul_lo_u32 v11, s0, v4
	v_mad_u64_u32 v[8:9], s[0:1], s0, v3, 0
	v_mul_u32_u24_e32 v5, 0x44, v5
	v_sub_u32_e32 v5, v0, v5
	v_add3_u32 v9, v9, v11, v10
	v_lshlrev_b64 v[8:9], 2, v[8:9]
	v_mov_b32_e32 v0, s9
	v_add_co_u32_e64 v8, s[0:1], s8, v8
	v_addc_co_u32_e64 v0, s[0:1], v0, v9, s[0:1]
	v_add_co_u32_e64 v6, s[0:1], v8, v6
	v_addc_co_u32_e64 v0, s[0:1], v0, v7, s[0:1]
	v_lshlrev_b32_e32 v8, 2, v5
	v_add_co_u32_e64 v6, s[0:1], v6, v8
	v_addc_co_u32_e64 v7, s[0:1], 0, v0, s[0:1]
	global_load_dword v0, v[6:7], off
	global_load_dword v9, v[6:7], off offset:272
	global_load_dword v10, v[6:7], off offset:544
	;; [unrolled: 1-line block ×9, first 2 shown]
	v_add3_u32 v6, 0, v27, v8
	v_add_u32_e32 v7, 0x400, v6
	v_add_u32_e32 v8, 0x800, v6
	s_waitcnt vmcnt(8)
	ds_write2_b32 v6, v0, v9 offset1:68
	s_waitcnt vmcnt(6)
	ds_write2_b32 v6, v10, v11 offset0:136 offset1:204
	s_waitcnt vmcnt(4)
	ds_write2_b32 v7, v12, v13 offset0:16 offset1:84
	;; [unrolled: 2-line block ×4, first 2 shown]
.LBB0_12:
	s_or_b64 exec, exec, s[4:5]
	v_lshlrev_b32_e32 v25, 2, v5
	v_add3_u32 v26, 0, v25, v27
	v_add_u32_e32 v6, 0x800, v26
	s_waitcnt lgkmcnt(0)
	s_barrier
	ds_read2_b32 v[20:21], v26 offset0:40 offset1:80
	ds_read2_b32 v[8:9], v6 offset0:88 offset1:128
	v_add_u32_e32 v0, 0, v27
	v_add_u32_e32 v24, v0, v25
	ds_read_b32 v30, v24
	s_mov_b32 s6, 0xb8d2
	s_waitcnt lgkmcnt(1)
	v_pk_add_f16 v49, v9, v20 op_sel:[1,1] op_sel_hi:[0,0]
	v_pk_add_f16 v46, v20, v9 op_sel:[1,1] op_sel_hi:[0,0] neg_lo:[0,1] neg_hi:[0,1]
	v_lshrrev_b32_e32 v32, 16, v49
	v_mul_f16_e32 v55, 0xba62, v46
	v_pk_add_f16 v35, v21, v8 neg_lo:[0,1] neg_hi:[0,1]
	s_movk_i32 s15, 0x3bb2
	v_fma_f16 v7, v32, s6, -v55
	v_pk_add_f16 v34, v8, v21
	s_mov_b32 s7, 0xb461
	v_mul_f16_sdwa v56, v35, s15 dst_sel:DWORD dst_unused:UNUSED_PAD src0_sel:WORD_1 src1_sel:DWORD
	s_waitcnt lgkmcnt(0)
	v_add_f16_e32 v7, v30, v7
	v_fma_f16 v10, v34, s7, -v56
	s_mov_b32 s8, 0xbacd
	v_mul_f16_e32 v53, 0xb836, v46
	v_add_f16_e32 v7, v10, v7
	v_fma_f16 v10, v32, s8, -v53
	v_add_f16_e32 v12, v30, v10
	ds_read2_b32 v[10:11], v6 offset0:8 offset1:48
	ds_read2_b32 v[22:23], v26 offset0:120 offset1:160
	s_movk_i32 s17, 0x3b29
	s_movk_i32 s9, 0x3722
	v_mul_f16_sdwa v54, v35, s17 dst_sel:DWORD dst_unused:UNUSED_PAD src0_sel:WORD_1 src1_sel:DWORD
	s_mov_b32 s18, 0xb5c8
	s_waitcnt lgkmcnt(0)
	v_pk_add_f16 v38, v22, v11 neg_lo:[0,1] neg_hi:[0,1]
	v_fma_f16 v6, v34, s9, -v54
	s_movk_i32 s14, 0x3b76
	v_pk_add_f16 v37, v11, v22
	v_mul_f16_sdwa v57, v38, s18 dst_sel:DWORD dst_unused:UNUSED_PAD src0_sel:WORD_1 src1_sel:DWORD
	s_mov_b32 s20, 0xbbf7
	v_add_f16_e32 v6, v6, v12
	v_fma_f16 v12, v37, s14, -v57
	s_movk_i32 s16, 0x2de8
	v_mul_f16_sdwa v59, v38, s20 dst_sel:DWORD dst_unused:UNUSED_PAD src0_sel:WORD_1 src1_sel:DWORD
	s_mov_b32 s19, 0xb836
	v_pk_add_f16 v40, v23, v10 neg_lo:[0,1] neg_hi:[0,1]
	v_add_f16_e32 v7, v12, v7
	v_fma_f16 v12, v37, s16, -v59
	v_pk_add_f16 v39, v10, v23
	v_mul_f16_sdwa v58, v40, s19 dst_sel:DWORD dst_unused:UNUSED_PAD src0_sel:WORD_1 src1_sel:DWORD
	v_add_f16_e32 v6, v12, v6
	v_fma_f16 v12, v39, s8, -v58
	v_add_f16_e32 v7, v12, v7
	v_add_u32_e32 v36, 0x400, v26
	ds_read2_b32 v[14:15], v26 offset0:200 offset1:240
	ds_read2_b32 v[12:13], v36 offset0:184 offset1:224
	s_movk_i32 s25, 0x3a62
	v_mul_f16_sdwa v62, v40, s25 dst_sel:DWORD dst_unused:UNUSED_PAD src0_sel:WORD_1 src1_sel:DWORD
	s_movk_i32 s29, 0x3bf7
	v_fma_f16 v16, v39, s6, -v62
	s_waitcnt lgkmcnt(0)
	v_pk_add_f16 v42, v14, v13 neg_lo:[0,1] neg_hi:[0,1]
	v_pk_add_f16 v41, v13, v14
	v_mul_f16_sdwa v60, v42, s29 dst_sel:DWORD dst_unused:UNUSED_PAD src0_sel:WORD_1 src1_sel:DWORD
	v_add_f16_e32 v6, v16, v6
	v_fma_f16 v16, v41, s16, -v60
	v_mul_f16_sdwa v63, v42, s18 dst_sel:DWORD dst_unused:UNUSED_PAD src0_sel:WORD_1 src1_sel:DWORD
	s_mov_b32 s23, 0xb964
	v_pk_add_f16 v44, v15, v12 neg_lo:[0,1] neg_hi:[0,1]
	v_add_f16_e32 v7, v16, v7
	v_fma_f16 v16, v41, s14, -v63
	s_movk_i32 s21, 0x39e9
	v_pk_add_f16 v43, v12, v15
	v_mul_f16_sdwa v61, v44, s23 dst_sel:DWORD dst_unused:UNUSED_PAD src0_sel:WORD_1 src1_sel:DWORD
	v_add_f16_e32 v6, v16, v6
	v_fma_f16 v16, v43, s21, -v61
	v_add_f16_e32 v7, v16, v7
	ds_read2_b32 v[18:19], v36 offset0:24 offset1:64
	ds_read2_b32 v[16:17], v36 offset0:104 offset1:144
	s_mov_b32 s24, 0xb1e1
	s_mov_b32 s22, 0xbbdd
	v_mul_f16_sdwa v65, v44, s24 dst_sel:DWORD dst_unused:UNUSED_PAD src0_sel:WORD_1 src1_sel:DWORD
	v_fma_f16 v28, v43, s22, -v65
	s_waitcnt lgkmcnt(0)
	v_pk_add_f16 v47, v18, v17 neg_lo:[0,1] neg_hi:[0,1]
	v_pk_add_f16 v45, v17, v18
	v_mul_f16_sdwa v64, v47, s24 dst_sel:DWORD dst_unused:UNUSED_PAD src0_sel:WORD_1 src1_sel:DWORD
	s_movk_i32 s28, 0x3964
	v_add_f16_e32 v6, v28, v6
	v_fma_f16 v28, v45, s22, -v64
	v_mul_f16_sdwa v67, v47, s28 dst_sel:DWORD dst_unused:UNUSED_PAD src0_sel:WORD_1 src1_sel:DWORD
	v_pk_add_f16 v50, v19, v16 neg_lo:[0,1] neg_hi:[0,1]
	v_add_f16_e32 v7, v28, v7
	v_fma_f16 v28, v45, s21, -v67
	s_mov_b32 s26, 0xbbb2
	v_pk_add_f16 v48, v16, v19
	v_mul_f16_sdwa v66, v50, s17 dst_sel:DWORD dst_unused:UNUSED_PAD src0_sel:WORD_1 src1_sel:DWORD
	v_add_f16_e32 v6, v28, v6
	v_fma_f16 v28, v48, s9, -v66
	v_mul_f16_sdwa v68, v50, s26 dst_sel:DWORD dst_unused:UNUSED_PAD src0_sel:WORD_1 src1_sel:DWORD
	v_add_f16_e32 v7, v28, v7
	v_fma_f16 v28, v48, s7, -v68
	s_mov_b32 s27, 0xba62
	v_mul_f16_e32 v69, 0xb8d2, v49
	v_lshrrev_b32_e32 v51, 16, v46
	v_add_f16_e32 v6, v28, v6
	v_fma_f16 v28, v51, s27, v69
	v_mul_f16_sdwa v70, v34, s7 dst_sel:DWORD dst_unused:UNUSED_PAD src0_sel:WORD_1 src1_sel:DWORD
	s_mov_b32 s1, 0xb836b1e1
	v_add_f16_sdwa v28, v30, v28 dst_sel:DWORD dst_unused:UNUSED_PAD src0_sel:WORD_1 src1_sel:DWORD
	v_fma_f16 v29, v35, s15, v70
	s_mov_b32 s0, 0xbbddbacd
	v_pk_mul_f16 v52, v46, s1
	s_mov_b32 s1, 0x37223b76
	v_add_f16_e32 v28, v29, v28
	v_pk_fma_f16 v29, v49, s0, v52 op_sel:[0,0,1] op_sel_hi:[1,1,0]
	s_mov_b32 s4, 0x35c83b29
	v_pk_mul_f16 v77, v34, s1
	v_pk_add_f16 v29, v30, v29 op_sel:[1,0] op_sel_hi:[0,1]
	v_pk_fma_f16 v31, v35, s4, v77 op_sel:[0,0,1] op_sel_hi:[1,1,0]
	v_pk_add_f16 v29, v31, v29
	v_mul_f16_e32 v31, 0xbbdd, v49
	v_fma_f16 v33, v51, s24, v31
	s_movk_i32 s30, 0x35c8
	v_mul_f16_sdwa v85, v34, s14 dst_sel:DWORD dst_unused:UNUSED_PAD src0_sel:WORD_1 src1_sel:DWORD
	v_add_f16_sdwa v33, v30, v33 dst_sel:DWORD dst_unused:UNUSED_PAD src0_sel:WORD_1 src1_sel:DWORD
	v_fma_f16 v71, v35, s30, v85
	v_add_f16_e32 v33, v71, v33
	v_mul_f16_sdwa v71, v37, s14 dst_sel:DWORD dst_unused:UNUSED_PAD src0_sel:WORD_1 src1_sel:DWORD
	s_mov_b32 s1, 0x2de8bacd
	v_fma_f16 v72, v38, s18, v71
	s_mov_b32 s5, 0xb836bbf7
	v_pk_mul_f16 v78, v37, s1
	v_add_f16_e32 v28, v72, v28
	v_pk_fma_f16 v72, v38, s5, v78 op_sel:[0,0,1] op_sel_hi:[1,1,0]
	v_mul_f16_sdwa v86, v37, s8 dst_sel:DWORD dst_unused:UNUSED_PAD src0_sel:WORD_1 src1_sel:DWORD
	v_pk_add_f16 v29, v72, v29
	v_fma_f16 v72, v38, s19, v86
	v_add_f16_e32 v33, v72, v33
	v_mul_f16_sdwa v72, v39, s8 dst_sel:DWORD dst_unused:UNUSED_PAD src0_sel:WORD_1 src1_sel:DWORD
	s_mov_b32 s1, 0xb8d239e9
	v_fma_f16 v73, v40, s19, v72
	s_mov_b32 s31, 0x39643a62
	v_pk_mul_f16 v79, v39, s1
	v_add_f16_e32 v28, v73, v28
	v_pk_fma_f16 v73, v40, s31, v79 op_sel:[0,0,1] op_sel_hi:[1,1,0]
	v_mul_f16_sdwa v87, v39, s21 dst_sel:DWORD dst_unused:UNUSED_PAD src0_sel:WORD_1 src1_sel:DWORD
	v_pk_add_f16 v29, v73, v29
	;; [unrolled: 11-line block ×5, first 2 shown]
	v_fma_f16 v76, v47, s26, v90
	v_add_f16_e32 v33, v76, v33
	v_mul_f16_sdwa v76, v48, s9 dst_sel:DWORD dst_unused:UNUSED_PAD src0_sel:WORD_1 src1_sel:DWORD
	v_fma_f16 v83, v50, s17, v76
	s_mov_b32 s1, 0xb4612de8
	v_add_f16_e32 v28, v83, v28
	s_mov_b32 s36, 0x3bf7bbb2
	v_pk_mul_f16 v83, v48, s1
	v_pk_fma_f16 v84, v50, s36, v83 op_sel:[0,0,1] op_sel_hi:[1,1,0]
	v_pk_add_f16 v29, v84, v29
	s_mov_b32 s1, 0xffff
	v_pk_mul_f16 v84, v49, s0
	v_mul_f16_e32 v91, 0xb1e1, v51
	v_bfi_b32 v31, s1, v31, v84
	v_pack_b32_f16 v91, v91, v52
	v_pk_add_f16 v31, v31, v91 neg_lo:[0,1] neg_hi:[0,1]
	v_pack_b32_f16 v91, v85, v77
	v_pk_mul_f16 v85, v35, s4
	v_mul_f16_e32 v92, 0x35c8, v35
	v_bfi_b32 v92, s1, v92, v85
	v_pk_add_f16 v91, v91, v92 neg_lo:[0,1] neg_hi:[0,1]
	v_pk_add_f16 v31, v30, v31 op_sel:[1,0] op_sel_hi:[0,1]
	v_pk_add_f16 v31, v91, v31
	v_pack_b32_f16 v91, v86, v78
	v_pk_mul_f16 v86, v38, s5
	v_mul_f16_e32 v92, 0xb836, v38
	v_bfi_b32 v92, s1, v92, v86
	v_pk_add_f16 v91, v91, v92 neg_lo:[0,1] neg_hi:[0,1]
	v_pk_add_f16 v31, v91, v31
	v_pack_b32_f16 v91, v87, v79
	v_pk_mul_f16 v87, v40, s31
	v_mul_f16_e32 v92, 0x3964, v40
	v_bfi_b32 v92, s1, v92, v87
	v_pk_add_f16 v91, v91, v92 neg_lo:[0,1] neg_hi:[0,1]
	;; [unrolled: 6-line block ×5, first 2 shown]
	v_pk_add_f16 v31, v91, v31
	v_pk_mul_f16 v91, v50, s36
	v_mul_f16_e32 v92, 0x3bf7, v50
	v_mul_f16_sdwa v93, v48, s16 dst_sel:DWORD dst_unused:UNUSED_PAD src0_sel:WORD_1 src1_sel:DWORD
	v_bfi_b32 v92, s1, v92, v91
	v_pack_b32_f16 v94, v93, v83
	v_pk_add_f16 v92, v94, v92 neg_lo:[0,1] neg_hi:[0,1]
	v_pk_add_f16 v31, v92, v31
	v_fma_f16 v92, v50, s29, v93
	v_add_f16_e32 v33, v92, v33
	v_cmp_gt_u32_e64 s[0:1], 40, v5
	s_barrier
	s_and_saveexec_b64 s[4:5], s[0:1]
	s_cbranch_execz .LBB0_14
; %bb.13:
	v_mul_f16_e32 v95, 0xbacd, v32
	v_mul_f16_e32 v98, 0x3722, v34
	v_add_f16_e32 v53, v95, v53
	v_mul_f16_e32 v101, 0x2de8, v37
	v_add_f16_e32 v53, v30, v53
	v_add_f16_e32 v54, v98, v54
	v_mul_f16_e32 v104, 0xb8d2, v39
	v_add_f16_e32 v53, v54, v53
	;; [unrolled: 3-line block ×4, first 2 shown]
	v_add_f16_e32 v54, v107, v63
	v_mul_f16_e32 v93, 0xb8d2, v32
	v_mul_f16_e32 v113, 0x39e9, v45
	v_add_f16_e32 v53, v54, v53
	v_add_f16_e32 v54, v110, v65
	v_mul_f16_e32 v96, 0xb461, v34
	v_mul_f16_e32 v116, 0xb461, v48
	v_add_f16_e32 v53, v54, v53
	v_add_f16_e32 v54, v113, v67
	;; [unrolled: 1-line block ×3, first 2 shown]
	v_mul_f16_e32 v94, 0xba62, v51
	v_mul_f16_e32 v99, 0x3b76, v37
	v_add_f16_e32 v53, v54, v53
	v_add_f16_e32 v54, v116, v68
	;; [unrolled: 1-line block ×4, first 2 shown]
	v_mul_f16_e32 v97, 0x3bb2, v35
	v_mul_f16_e32 v102, 0xbacd, v39
	v_add_f16_e32 v53, v54, v53
	v_sub_f16_e32 v54, v69, v94
	v_add_f16_e32 v55, v56, v55
	v_add_f16_e32 v56, v99, v57
	v_mul_f16_e32 v100, 0xb5c8, v38
	v_mul_f16_e32 v105, 0x2de8, v41
	v_add_f16_sdwa v54, v30, v54 dst_sel:DWORD dst_unused:UNUSED_PAD src0_sel:WORD_1 src1_sel:DWORD
	v_sub_f16_e32 v59, v70, v97
	v_add_f16_e32 v55, v56, v55
	v_add_f16_e32 v56, v102, v58
	v_mul_f16_e32 v103, 0xb836, v40
	v_mul_f16_e32 v108, 0x39e9, v43
	v_add_f16_e32 v54, v59, v54
	v_sub_f16_e32 v59, v71, v100
	v_add_f16_e32 v55, v56, v55
	v_add_f16_e32 v56, v105, v60
	v_mul_f16_e32 v106, 0x3bf7, v42
	v_mul_f16_e32 v111, 0xbbdd, v45
	v_add_f16_e32 v54, v59, v54
	;; [unrolled: 6-line block ×3, first 2 shown]
	v_sub_f16_e32 v59, v73, v106
	v_add_f16_e32 v55, v56, v55
	v_add_f16_e32 v56, v111, v64
	v_mul_f16_e32 v112, 0xb1e1, v47
	v_add_f16_e32 v54, v59, v54
	v_sub_f16_e32 v59, v74, v109
	v_add_f16_e32 v55, v56, v55
	v_add_f16_e32 v56, v114, v66
	v_mul_f16_e32 v115, 0x3b29, v50
	v_add_f16_e32 v54, v59, v54
	v_sub_f16_e32 v59, v75, v112
	v_add_f16_e32 v55, v56, v55
	v_mul_f16_e32 v56, 0xb461, v49
	v_add_f16_e32 v54, v59, v54
	v_sub_f16_e32 v59, v76, v115
	v_fma_f16 v57, v51, s15, v56
	v_mul_f16_sdwa v58, v34, s8 dst_sel:DWORD dst_unused:UNUSED_PAD src0_sel:WORD_1 src1_sel:DWORD
	v_add_f16_e32 v54, v59, v54
	v_add_f16_sdwa v57, v30, v57 dst_sel:DWORD dst_unused:UNUSED_PAD src0_sel:WORD_1 src1_sel:DWORD
	v_fma_f16 v59, v35, s19, v58
	v_add_f16_e32 v57, v59, v57
	v_mul_f16_sdwa v59, v37, s21 dst_sel:DWORD dst_unused:UNUSED_PAD src0_sel:WORD_1 src1_sel:DWORD
	v_fma_f16 v60, v38, s23, v59
	v_add_f16_e32 v57, v60, v57
	v_mul_f16_sdwa v60, v39, s9 dst_sel:DWORD dst_unused:UNUSED_PAD src0_sel:WORD_1 src1_sel:DWORD
	;; [unrolled: 3-line block ×3, first 2 shown]
	s_movk_i32 s31, 0x31e1
	v_fma_f16 v62, v42, s31, v61
	v_add_f16_e32 v57, v62, v57
	v_mul_f16_sdwa v62, v43, s16 dst_sel:DWORD dst_unused:UNUSED_PAD src0_sel:WORD_1 src1_sel:DWORD
	v_fma_f16 v63, v44, s20, v62
	v_add_f16_e32 v57, v63, v57
	v_mul_f16_sdwa v63, v45, s14 dst_sel:DWORD dst_unused:UNUSED_PAD src0_sel:WORD_1 src1_sel:DWORD
	;; [unrolled: 3-line block ×3, first 2 shown]
	v_fma_f16 v65, v50, s25, v64
	v_add_f16_e32 v57, v65, v57
	v_mul_f16_e32 v65, 0xbbb2, v46
	s_movk_i32 s1, 0x3836
	v_fma_f16 v66, v32, s7, v65
	v_mul_f16_sdwa v67, v35, s1 dst_sel:DWORD dst_unused:UNUSED_PAD src0_sel:WORD_1 src1_sel:DWORD
	v_add_f16_e32 v66, v30, v66
	v_fma_f16 v68, v34, s8, v67
	v_add_f16_e32 v66, v68, v66
	v_mul_f16_sdwa v68, v38, s28 dst_sel:DWORD dst_unused:UNUSED_PAD src0_sel:WORD_1 src1_sel:DWORD
	v_fma_f16 v69, v37, s21, v68
	s_mov_b32 s0, 0xbb29
	v_add_f16_e32 v66, v69, v66
	v_mul_f16_sdwa v69, v40, s0 dst_sel:DWORD dst_unused:UNUSED_PAD src0_sel:WORD_1 src1_sel:DWORD
	v_fma_f16 v70, v39, s9, v69
	v_add_f16_e32 v66, v70, v66
	v_mul_f16_sdwa v70, v42, s24 dst_sel:DWORD dst_unused:UNUSED_PAD src0_sel:WORD_1 src1_sel:DWORD
	v_alignbit_b32 v52, v52, v52, 16
	v_fma_f16 v71, v41, s22, v70
	v_alignbit_b32 v92, v30, v30, 16
	v_alignbit_b32 v77, v77, v77, 16
	v_sub_f16_e32 v52, v84, v52
	v_add_f16_e32 v66, v71, v66
	v_mul_f16_sdwa v71, v44, s29 dst_sel:DWORD dst_unused:UNUSED_PAD src0_sel:WORD_1 src1_sel:DWORD
	v_alignbit_b32 v78, v78, v78, 16
	v_sub_f16_e32 v77, v77, v85
	v_add_f16_e32 v52, v92, v52
	v_fma_f16 v72, v43, s16, v71
	v_alignbit_b32 v79, v79, v79, 16
	v_add_f16_e32 v52, v77, v52
	v_sub_f16_e32 v77, v78, v86
	v_add_f16_e32 v66, v72, v66
	v_mul_f16_sdwa v72, v47, s18 dst_sel:DWORD dst_unused:UNUSED_PAD src0_sel:WORD_1 src1_sel:DWORD
	v_alignbit_b32 v80, v80, v80, 16
	v_add_f16_e32 v52, v77, v52
	v_sub_f16_e32 v77, v79, v87
	v_fma_f16 v73, v45, s14, v72
	v_alignbit_b32 v81, v81, v81, 16
	v_add_f16_e32 v52, v77, v52
	v_sub_f16_e32 v77, v80, v88
	v_add_f16_e32 v66, v73, v66
	v_mul_f16_sdwa v73, v50, s27 dst_sel:DWORD dst_unused:UNUSED_PAD src0_sel:WORD_1 src1_sel:DWORD
	v_alignbit_b32 v82, v82, v82, 16
	v_add_f16_e32 v52, v77, v52
	v_sub_f16_e32 v77, v81, v89
	v_fma_f16 v74, v48, s6, v73
	v_alignbit_b32 v83, v83, v83, 16
	v_add_f16_e32 v52, v77, v52
	v_sub_f16_e32 v77, v82, v90
	v_add_f16_e32 v66, v74, v66
	v_mul_f16_e32 v74, 0x2de8, v49
	v_add_f16_e32 v52, v77, v52
	v_sub_f16_e32 v77, v83, v91
	v_fma_f16 v75, v51, s29, v74
	v_mul_f16_sdwa v76, v34, s22 dst_sel:DWORD dst_unused:UNUSED_PAD src0_sel:WORD_1 src1_sel:DWORD
	v_add_f16_e32 v52, v77, v52
	v_add_f16_sdwa v75, v30, v75 dst_sel:DWORD dst_unused:UNUSED_PAD src0_sel:WORD_1 src1_sel:DWORD
	v_fma_f16 v77, v35, s31, v76
	v_add_f16_e32 v75, v77, v75
	v_mul_f16_sdwa v77, v37, s7 dst_sel:DWORD dst_unused:UNUSED_PAD src0_sel:WORD_1 src1_sel:DWORD
	v_fma_f16 v78, v38, s26, v77
	v_add_f16_e32 v75, v78, v75
	v_mul_f16_sdwa v78, v39, s14 dst_sel:DWORD dst_unused:UNUSED_PAD src0_sel:WORD_1 src1_sel:DWORD
	;; [unrolled: 3-line block ×6, first 2 shown]
	v_fma_f16 v83, v50, s23, v82
	v_add_f16_e32 v75, v83, v75
	v_mul_f16_e32 v83, 0xbbf7, v46
	v_fma_f16 v84, v32, s16, v83
	v_mul_f16_sdwa v85, v35, s24 dst_sel:DWORD dst_unused:UNUSED_PAD src0_sel:WORD_1 src1_sel:DWORD
	v_add_f16_e32 v84, v30, v84
	v_fma_f16 v86, v34, s22, v85
	v_add_f16_e32 v84, v86, v84
	v_mul_f16_sdwa v86, v38, s15 dst_sel:DWORD dst_unused:UNUSED_PAD src0_sel:WORD_1 src1_sel:DWORD
	v_fma_f16 v87, v37, s7, v86
	v_add_f16_e32 v84, v87, v84
	v_mul_f16_sdwa v87, v40, s30 dst_sel:DWORD dst_unused:UNUSED_PAD src0_sel:WORD_1 src1_sel:DWORD
	;; [unrolled: 3-line block ×6, first 2 shown]
	v_fma_f16 v92, v48, s21, v91
	v_add_f16_e32 v84, v92, v84
	v_mul_f16_e32 v92, 0x3722, v49
	v_fma_f16 v93, v51, s17, v92
	v_mul_f16_sdwa v94, v34, s6 dst_sel:DWORD dst_unused:UNUSED_PAD src0_sel:WORD_1 src1_sel:DWORD
	v_add_f16_sdwa v93, v30, v93 dst_sel:DWORD dst_unused:UNUSED_PAD src0_sel:WORD_1 src1_sel:DWORD
	v_fma_f16 v95, v35, s25, v94
	v_add_f16_e32 v93, v95, v93
	v_mul_f16_sdwa v95, v37, s22 dst_sel:DWORD dst_unused:UNUSED_PAD src0_sel:WORD_1 src1_sel:DWORD
	v_fma_f16 v96, v38, s24, v95
	v_add_f16_e32 v93, v96, v93
	v_mul_f16_sdwa v96, v39, s7 dst_sel:DWORD dst_unused:UNUSED_PAD src0_sel:WORD_1 src1_sel:DWORD
	;; [unrolled: 3-line block ×6, first 2 shown]
	v_fma_f16 v101, v50, s1, v100
	v_fma_f16 v56, v51, s26, v56
	v_add_f16_e32 v93, v101, v93
	v_mul_f16_e32 v101, 0xbb29, v46
	v_add_f16_sdwa v56, v30, v56 dst_sel:DWORD dst_unused:UNUSED_PAD src0_sel:WORD_1 src1_sel:DWORD
	v_fma_f16 v58, v35, s1, v58
	v_fma_f16 v102, v32, s9, v101
	v_mul_f16_sdwa v103, v35, s27 dst_sel:DWORD dst_unused:UNUSED_PAD src0_sel:WORD_1 src1_sel:DWORD
	v_add_f16_e32 v56, v58, v56
	v_fma_f16 v58, v38, s28, v59
	v_add_f16_e32 v102, v30, v102
	v_fma_f16 v104, v34, s6, v103
	;; [unrolled: 2-line block ×3, first 2 shown]
	v_add_f16_e32 v102, v104, v102
	v_mul_f16_sdwa v104, v38, s31 dst_sel:DWORD dst_unused:UNUSED_PAD src0_sel:WORD_1 src1_sel:DWORD
	v_add_f16_e32 v56, v58, v56
	v_fma_f16 v58, v42, s24, v61
	v_fma_f16 v105, v37, s22, v104
	v_add_f16_e32 v56, v58, v56
	v_fma_f16 v58, v44, s29, v62
	v_add_f16_e32 v102, v105, v102
	v_mul_f16_sdwa v105, v40, s15 dst_sel:DWORD dst_unused:UNUSED_PAD src0_sel:WORD_1 src1_sel:DWORD
	v_add_f16_e32 v56, v58, v56
	v_fma_f16 v58, v47, s18, v63
	v_fma_f16 v106, v39, s7, v105
	v_add_f16_e32 v56, v58, v56
	v_fma_f16 v58, v50, s27, v64
	v_add_f16_e32 v102, v106, v102
	v_mul_f16_sdwa v106, v42, s28 dst_sel:DWORD dst_unused:UNUSED_PAD src0_sel:WORD_1 src1_sel:DWORD
	v_add_f16_e32 v56, v58, v56
	v_fma_f16 v58, v32, s7, -v65
	v_fma_f16 v107, v41, s21, v106
	v_add_f16_e32 v58, v30, v58
	v_fma_f16 v59, v34, s8, -v67
	v_add_f16_e32 v102, v107, v102
	v_mul_f16_sdwa v107, v44, s18 dst_sel:DWORD dst_unused:UNUSED_PAD src0_sel:WORD_1 src1_sel:DWORD
	v_add_f16_e32 v58, v59, v58
	v_fma_f16 v59, v37, s21, -v68
	v_fma_f16 v108, v43, s14, v107
	v_add_f16_e32 v58, v59, v58
	v_fma_f16 v59, v39, s9, -v69
	;; [unrolled: 7-line block ×3, first 2 shown]
	v_add_f16_e32 v102, v109, v102
	v_mul_f16_sdwa v109, v50, s19 dst_sel:DWORD dst_unused:UNUSED_PAD src0_sel:WORD_1 src1_sel:DWORD
	v_add_f16_e32 v58, v59, v58
	v_fma_f16 v59, v45, s14, -v72
	v_fma_f16 v110, v48, s8, v109
	v_pk_add_f16 v20, v30, v20
	v_add_f16_e32 v58, v59, v58
	v_fma_f16 v59, v48, s6, -v73
	v_add_f16_e32 v102, v110, v102
	v_mul_f16_e32 v110, 0x39e9, v49
	v_pk_add_f16 v20, v20, v21
	v_add_f16_e32 v58, v59, v58
	v_fma_f16 v59, v51, s20, v74
	v_fma_f16 v111, v51, s28, v110
	v_mul_f16_sdwa v112, v34, s16 dst_sel:DWORD dst_unused:UNUSED_PAD src0_sel:WORD_1 src1_sel:DWORD
	v_pk_add_f16 v20, v20, v22
	v_add_f16_sdwa v59, v30, v59 dst_sel:DWORD dst_unused:UNUSED_PAD src0_sel:WORD_1 src1_sel:DWORD
	v_fma_f16 v60, v35, s24, v76
	v_add_f16_sdwa v111, v30, v111 dst_sel:DWORD dst_unused:UNUSED_PAD src0_sel:WORD_1 src1_sel:DWORD
	v_fma_f16 v113, v35, s29, v112
	v_pk_add_f16 v20, v20, v23
	v_add_f16_e32 v59, v60, v59
	v_fma_f16 v60, v38, s15, v77
	v_add_f16_e32 v111, v113, v111
	v_mul_f16_sdwa v113, v37, s6 dst_sel:DWORD dst_unused:UNUSED_PAD src0_sel:WORD_1 src1_sel:DWORD
	v_add_f16_e32 v59, v60, v59
	v_pk_add_f16 v14, v20, v14
	v_fma_f16 v20, v40, s30, v78
	v_fma_f16 v114, v38, s25, v113
	v_add_f16_e32 v20, v20, v59
	v_fma_f16 v59, v42, s0, v79
	v_add_f16_e32 v111, v114, v111
	v_mul_f16_sdwa v114, v39, s22 dst_sel:DWORD dst_unused:UNUSED_PAD src0_sel:WORD_1 src1_sel:DWORD
	v_add_f16_e32 v20, v59, v20
	v_fma_f16 v59, v44, s19, v80
	v_fma_f16 v115, v40, s31, v114
	v_add_f16_e32 v20, v59, v20
	v_fma_f16 v59, v47, s25, v81
	v_add_f16_e32 v111, v115, v111
	v_mul_f16_sdwa v115, v41, s8 dst_sel:DWORD dst_unused:UNUSED_PAD src0_sel:WORD_1 src1_sel:DWORD
	v_add_f16_e32 v20, v59, v20
	v_fma_f16 v59, v50, s28, v82
	v_fma_f16 v116, v42, s19, v115
	v_add_f16_e32 v20, v59, v20
	v_fma_f16 v59, v32, s16, -v83
	v_add_f16_e32 v111, v116, v111
	v_mul_f16_sdwa v116, v43, s7 dst_sel:DWORD dst_unused:UNUSED_PAD src0_sel:WORD_1 src1_sel:DWORD
	v_add_f16_e32 v59, v30, v59
	v_fma_f16 v60, v34, s22, -v85
	v_fma_f16 v117, v44, s26, v116
	v_add_f16_e32 v59, v60, v59
	v_fma_f16 v60, v37, s7, -v86
	v_add_f16_e32 v111, v117, v111
	v_mul_f16_sdwa v117, v45, s9 dst_sel:DWORD dst_unused:UNUSED_PAD src0_sel:WORD_1 src1_sel:DWORD
	v_add_f16_e32 v59, v60, v59
	v_fma_f16 v60, v39, s14, -v87
	;; [unrolled: 7-line block ×3, first 2 shown]
	v_fma_f16 v119, v50, s18, v118
	v_add_f16_e32 v59, v60, v59
	v_fma_f16 v60, v45, s6, -v90
	v_add_f16_e32 v111, v119, v111
	v_mul_f16_e32 v119, 0xb964, v46
	v_add_f16_e32 v59, v60, v59
	v_fma_f16 v60, v48, s21, -v91
	v_fma_f16 v120, v32, s21, v119
	v_mul_f16_sdwa v121, v35, s20 dst_sel:DWORD dst_unused:UNUSED_PAD src0_sel:WORD_1 src1_sel:DWORD
	v_add_f16_e32 v59, v60, v59
	v_fma_f16 v60, v51, s0, v92
	v_add_f16_e32 v120, v30, v120
	v_fma_f16 v122, v34, s16, v121
	v_add_f16_sdwa v60, v30, v60 dst_sel:DWORD dst_unused:UNUSED_PAD src0_sel:WORD_1 src1_sel:DWORD
	v_fma_f16 v61, v35, s27, v94
	v_add_f16_e32 v120, v122, v120
	v_mul_f16_sdwa v122, v38, s27 dst_sel:DWORD dst_unused:UNUSED_PAD src0_sel:WORD_1 src1_sel:DWORD
	v_add_f16_e32 v60, v61, v60
	v_fma_f16 v61, v38, s31, v95
	v_fma_f16 v123, v37, s6, v122
	v_add_f16_e32 v60, v61, v60
	v_fma_f16 v61, v40, s15, v96
	v_add_f16_e32 v120, v123, v120
	v_mul_f16_sdwa v123, v40, s24 dst_sel:DWORD dst_unused:UNUSED_PAD src0_sel:WORD_1 src1_sel:DWORD
	v_add_f16_e32 v60, v61, v60
	v_fma_f16 v61, v42, s28, v97
	v_fma_f16 v124, v39, s22, v123
	v_mul_f16_sdwa v21, v42, s1 dst_sel:DWORD dst_unused:UNUSED_PAD src0_sel:WORD_1 src1_sel:DWORD
	v_add_f16_e32 v60, v61, v60
	v_fma_f16 v61, v44, s18, v98
	v_add_f16_e32 v120, v124, v120
	v_fma_f16 v124, v41, s8, v21
	v_add_f16_e32 v60, v61, v60
	v_fma_f16 v61, v47, s20, v99
	v_add_f16_e32 v120, v124, v120
	v_mul_f16_sdwa v124, v44, s15 dst_sel:DWORD dst_unused:UNUSED_PAD src0_sel:WORD_1 src1_sel:DWORD
	v_add_f16_e32 v60, v61, v60
	v_fma_f16 v61, v50, s19, v100
	v_fma_f16 v125, v43, s7, v124
	v_mul_f16_sdwa v22, v47, s17 dst_sel:DWORD dst_unused:UNUSED_PAD src0_sel:WORD_1 src1_sel:DWORD
	v_add_f16_e32 v60, v61, v60
	v_fma_f16 v61, v32, s9, -v101
	v_add_f16_e32 v120, v125, v120
	v_fma_f16 v23, v45, s9, v22
	v_add_f16_e32 v61, v30, v61
	v_fma_f16 v62, v34, s6, -v103
	v_add_f16_e32 v23, v23, v120
	v_mul_f16_sdwa v120, v50, s30 dst_sel:DWORD dst_unused:UNUSED_PAD src0_sel:WORD_1 src1_sel:DWORD
	v_add_f16_e32 v61, v62, v61
	v_fma_f16 v62, v37, s22, -v104
	v_fma_f16 v125, v48, s14, v120
	v_mul_f16_e32 v49, 0x3b76, v49
	v_add_f16_e32 v61, v62, v61
	v_fma_f16 v62, v39, s7, -v105
	v_add_f16_e32 v23, v125, v23
	v_fma_f16 v125, v51, s30, v49
	v_mul_f16_sdwa v126, v34, s21 dst_sel:DWORD dst_unused:UNUSED_PAD src0_sel:WORD_1 src1_sel:DWORD
	v_add_f16_e32 v61, v62, v61
	v_fma_f16 v62, v41, s21, -v106
	v_add_f16_sdwa v125, v30, v125 dst_sel:DWORD dst_unused:UNUSED_PAD src0_sel:WORD_1 src1_sel:DWORD
	v_fma_f16 v127, v35, s28, v126
	v_add_f16_e32 v61, v62, v61
	v_fma_f16 v62, v43, s14, -v107
	v_add_f16_e32 v125, v127, v125
	v_mul_f16_sdwa v127, v37, s9 dst_sel:DWORD dst_unused:UNUSED_PAD src0_sel:WORD_1 src1_sel:DWORD
	v_add_f16_e32 v61, v62, v61
	v_fma_f16 v62, v45, s16, -v108
	v_fma_f16 v128, v38, s17, v127
	v_add_f16_e32 v61, v62, v61
	v_fma_f16 v62, v48, s8, -v109
	v_add_f16_e32 v125, v128, v125
	v_mul_f16_sdwa v128, v39, s16 dst_sel:DWORD dst_unused:UNUSED_PAD src0_sel:WORD_1 src1_sel:DWORD
	v_add_f16_e32 v61, v62, v61
	v_fma_f16 v62, v51, s23, v110
	v_fma_f16 v129, v40, s29, v128
	v_add_f16_sdwa v62, v30, v62 dst_sel:DWORD dst_unused:UNUSED_PAD src0_sel:WORD_1 src1_sel:DWORD
	v_fma_f16 v63, v35, s20, v112
	v_add_f16_e32 v125, v129, v125
	v_mul_f16_sdwa v129, v41, s7 dst_sel:DWORD dst_unused:UNUSED_PAD src0_sel:WORD_1 src1_sel:DWORD
	v_add_f16_e32 v62, v63, v62
	v_fma_f16 v63, v38, s27, v113
	v_fma_f16 v130, v42, s15, v129
	v_add_f16_e32 v62, v63, v62
	v_fma_f16 v63, v40, s24, v114
	v_add_f16_e32 v125, v130, v125
	v_mul_f16_sdwa v130, v43, s6 dst_sel:DWORD dst_unused:UNUSED_PAD src0_sel:WORD_1 src1_sel:DWORD
	v_add_f16_e32 v62, v63, v62
	v_fma_f16 v63, v42, s1, v115
	v_fma_f16 v131, v44, s25, v130
	v_add_f16_e32 v62, v63, v62
	;; [unrolled: 7-line block ×3, first 2 shown]
	v_fma_f16 v63, v50, s30, v118
	v_add_f16_e32 v125, v132, v125
	v_mul_f16_sdwa v132, v48, s22 dst_sel:DWORD dst_unused:UNUSED_PAD src0_sel:WORD_1 src1_sel:DWORD
	v_add_f16_e32 v62, v63, v62
	v_fma_f16 v63, v32, s21, -v119
	v_fma_f16 v133, v50, s31, v132
	v_mul_f16_e32 v46, 0xb5c8, v46
	v_add_f16_e32 v63, v30, v63
	v_fma_f16 v64, v34, s16, -v121
	v_add_f16_e32 v125, v133, v125
	v_fma_f16 v133, v32, s14, v46
	v_mul_f16_sdwa v134, v35, s23 dst_sel:DWORD dst_unused:UNUSED_PAD src0_sel:WORD_1 src1_sel:DWORD
	v_add_f16_e32 v63, v64, v63
	v_fma_f16 v64, v37, s6, -v122
	v_add_f16_e32 v133, v30, v133
	v_fma_f16 v135, v34, s21, v134
	v_add_f16_e32 v63, v64, v63
	v_fma_f16 v64, v39, s22, -v123
	v_add_f16_e32 v133, v135, v133
	v_mul_f16_sdwa v135, v38, s0 dst_sel:DWORD dst_unused:UNUSED_PAD src0_sel:WORD_1 src1_sel:DWORD
	v_add_f16_e32 v63, v64, v63
	v_fma_f16 v21, v41, s8, -v21
	v_fma_f16 v136, v37, s9, v135
	v_add_f16_e32 v21, v21, v63
	v_fma_f16 v63, v43, s7, -v124
	v_add_f16_e32 v133, v136, v133
	v_mul_f16_sdwa v136, v40, s20 dst_sel:DWORD dst_unused:UNUSED_PAD src0_sel:WORD_1 src1_sel:DWORD
	v_add_f16_e32 v21, v63, v21
	v_fma_f16 v22, v45, s9, -v22
	v_fma_f16 v137, v39, s16, v136
	v_add_f16_e32 v21, v22, v21
	v_fma_f16 v22, v48, s14, -v120
	v_pk_add_f16 v14, v14, v15
	v_add_f16_e32 v133, v137, v133
	v_mul_f16_sdwa v137, v42, s26 dst_sel:DWORD dst_unused:UNUSED_PAD src0_sel:WORD_1 src1_sel:DWORD
	v_add_f16_e32 v21, v22, v21
	v_fma_f16 v22, v51, s18, v49
	v_fma_f16 v32, v32, s14, -v46
	v_pk_add_f16 v14, v14, v18
	v_fma_f16 v138, v41, s7, v137
	v_add_f16_sdwa v22, v30, v22 dst_sel:DWORD dst_unused:UNUSED_PAD src0_sel:WORD_1 src1_sel:DWORD
	v_add_f16_e32 v30, v30, v32
	v_fma_f16 v32, v34, s21, -v134
	v_pk_add_f16 v14, v14, v19
	v_add_f16_e32 v133, v138, v133
	v_mul_f16_sdwa v138, v44, s27 dst_sel:DWORD dst_unused:UNUSED_PAD src0_sel:WORD_1 src1_sel:DWORD
	v_add_f16_e32 v30, v32, v30
	v_fma_f16 v32, v37, s9, -v135
	v_pk_add_f16 v14, v14, v16
	v_fma_f16 v139, v43, s6, v138
	v_add_f16_e32 v30, v32, v30
	v_fma_f16 v32, v39, s16, -v136
	v_pk_add_f16 v14, v14, v17
	v_add_f16_e32 v133, v139, v133
	v_mul_f16_sdwa v139, v47, s19 dst_sel:DWORD dst_unused:UNUSED_PAD src0_sel:WORD_1 src1_sel:DWORD
	v_add_f16_e32 v30, v32, v30
	v_fma_f16 v32, v41, s7, -v137
	v_pk_add_f16 v12, v14, v12
	v_fma_f16 v140, v45, s8, v139
	v_add_f16_e32 v30, v32, v30
	v_fma_f16 v32, v43, s6, -v138
	v_pk_add_f16 v12, v12, v13
	v_add_f16_e32 v133, v140, v133
	v_mul_f16_sdwa v140, v50, s24 dst_sel:DWORD dst_unused:UNUSED_PAD src0_sel:WORD_1 src1_sel:DWORD
	v_add_f16_e32 v30, v32, v30
	v_fma_f16 v32, v45, s8, -v139
	v_pk_add_f16 v10, v12, v10
	v_fma_f16 v141, v48, s22, v140
	v_add_f16_e32 v30, v32, v30
	v_fma_f16 v32, v48, s22, -v140
	v_pk_add_f16 v10, v10, v11
	v_add_f16_e32 v133, v141, v133
	v_add_f16_e32 v30, v32, v30
	v_mul_u32_u24_e32 v32, 0x44, v5
	v_pk_add_f16 v8, v10, v8
	v_fma_f16 v35, v35, s23, v126
	v_add3_u32 v32, 0, v32, v27
	v_pk_add_f16 v8, v8, v9
	v_pack_b32_f16 v9, v133, v125
	v_add_f16_e32 v22, v35, v22
	v_fma_f16 v35, v38, s0, v127
	ds_write2_b32 v32, v8, v9 offset1:1
	v_pack_b32_f16 v8, v102, v93
	v_pack_b32_f16 v9, v23, v111
	v_add_f16_e32 v22, v35, v22
	v_fma_f16 v35, v40, s20, v128
	ds_write2_b32 v32, v9, v8 offset0:2 offset1:3
	v_pack_b32_f16 v8, v66, v57
	v_pack_b32_f16 v9, v84, v75
	v_add_f16_e32 v22, v35, v22
	v_fma_f16 v35, v42, s26, v129
	ds_write2_b32 v32, v9, v8 offset0:4 offset1:5
	;; [unrolled: 5-line block ×3, first 2 shown]
	v_alignbit_b32 v8, v33, v31, 16
	v_alignbit_b32 v9, v31, v29, 16
	s_mov_b32 s0, 0x5040100
	v_add_f16_e32 v22, v35, v22
	v_fma_f16 v35, v47, s19, v131
	ds_write2_b32 v32, v9, v8 offset0:8 offset1:9
	v_perm_b32 v8, v28, v7, s0
	v_perm_b32 v9, v29, v6, s0
	v_add_f16_e32 v22, v35, v22
	v_fma_f16 v35, v50, s24, v132
	ds_write2_b32 v32, v9, v8 offset0:10 offset1:11
	v_pack_b32_f16 v8, v59, v20
	v_pack_b32_f16 v9, v58, v56
	v_add_f16_e32 v22, v35, v22
	ds_write2_b32 v32, v9, v8 offset0:12 offset1:13
	v_pack_b32_f16 v8, v21, v62
	v_pack_b32_f16 v9, v61, v60
	ds_write2_b32 v32, v9, v8 offset0:14 offset1:15
	v_pack_b32_f16 v8, v30, v22
	ds_write_b32 v32, v8 offset:64
.LBB0_14:
	s_or_b64 exec, exec, s[4:5]
	v_add_u32_e32 v8, 0x200, v26
	s_waitcnt lgkmcnt(0)
	s_barrier
	ds_read2_b32 v[10:11], v26 offset0:68 offset1:170
	ds_read2_b32 v[12:13], v8 offset0:110 offset1:212
	;; [unrolled: 1-line block ×3, first 2 shown]
	ds_read_b32 v16, v24
	ds_read_b32 v17, v26 offset:2312
	v_cmp_gt_u32_e64 s[0:1], 34, v5
	v_lshrrev_b32_e32 v9, 16, v31
	s_and_saveexec_b64 s[4:5], s[0:1]
	s_cbranch_execz .LBB0_16
; %bb.15:
	v_add_u32_e32 v6, 0x700, v26
	ds_read2_b32 v[8:9], v8 offset0:8 offset1:178
	ds_read2_b32 v[6:7], v6 offset0:28 offset1:198
	ds_read_u16 v18, v26 offset:1906
	s_mov_b32 s6, 0x5040100
	s_waitcnt lgkmcnt(2)
	v_lshrrev_b32_e32 v31, 16, v8
	v_lshrrev_b32_e32 v33, 16, v9
	s_waitcnt lgkmcnt(1)
	v_lshrrev_b32_e32 v28, 16, v7
	s_waitcnt lgkmcnt(0)
	v_perm_b32 v29, v8, v18, s6
.LBB0_16:
	s_or_b64 exec, exec, s[4:5]
	s_movk_i32 s6, 0xf1
	v_mul_lo_u16_sdwa v8, v5, s6 dst_sel:DWORD dst_unused:UNUSED_PAD src0_sel:BYTE_0 src1_sel:DWORD
	v_lshrrev_b16_e32 v22, 12, v8
	v_mul_lo_u16_e32 v8, 17, v22
	v_sub_u16_e32 v23, v5, v8
	v_mov_b32_e32 v8, 3
	v_add_u16_e32 v30, 0x44, v5
	v_mul_u32_u24_sdwa v18, v23, v8 dst_sel:DWORD dst_unused:UNUSED_PAD src0_sel:BYTE_0 src1_sel:DWORD
	v_mul_lo_u16_sdwa v32, v30, s6 dst_sel:DWORD dst_unused:UNUSED_PAD src0_sel:BYTE_0 src1_sel:DWORD
	v_lshlrev_b32_e32 v18, 2, v18
	v_lshrrev_b16_e32 v32, 12, v32
	global_load_dwordx3 v[19:21], v18, s[12:13]
	v_mul_lo_u16_e32 v18, 17, v32
	v_sub_u16_e32 v30, v30, v18
	v_mul_u32_u24_sdwa v18, v30, v8 dst_sel:DWORD dst_unused:UNUSED_PAD src0_sel:BYTE_0 src1_sel:DWORD
	v_lshlrev_b32_e32 v18, 2, v18
	global_load_dwordx3 v[34:36], v18, s[12:13]
	s_movk_i32 s7, 0x110
	v_mov_b32_e32 v18, 2
	s_waitcnt lgkmcnt(4)
	v_lshrrev_b32_e32 v39, 16, v11
	s_waitcnt lgkmcnt(3)
	v_lshrrev_b32_e32 v40, 16, v13
	;; [unrolled: 2-line block ×3, first 2 shown]
	v_mad_u32_u24 v22, v22, s7, 0
	v_lshlrev_b32_sdwa v23, v18, v23 dst_sel:DWORD dst_unused:UNUSED_PAD src0_sel:DWORD src1_sel:BYTE_0
	v_add3_u32 v22, v22, v23, v27
	s_waitcnt lgkmcnt(1)
	v_lshrrev_b32_e32 v37, 16, v16
	v_lshrrev_b32_e32 v42, 16, v12
	;; [unrolled: 1-line block ×3, first 2 shown]
	s_waitcnt lgkmcnt(0)
	v_lshrrev_b32_e32 v44, 16, v17
	v_lshrrev_b32_e32 v38, 16, v10
	s_load_dwordx2 s[2:3], s[2:3], 0x0
	s_waitcnt vmcnt(0) lgkmcnt(0)
	s_barrier
	v_mul_f16_sdwa v23, v19, v39 dst_sel:DWORD dst_unused:UNUSED_PAD src0_sel:WORD_1 src1_sel:DWORD
	v_mul_f16_sdwa v45, v19, v11 dst_sel:DWORD dst_unused:UNUSED_PAD src0_sel:WORD_1 src1_sel:DWORD
	;; [unrolled: 1-line block ×6, first 2 shown]
	v_fma_f16 v11, v19, v11, v23
	v_fma_f16 v19, v19, v39, -v45
	v_fma_f16 v13, v20, v13, v46
	v_fma_f16 v20, v20, v40, -v47
	;; [unrolled: 2-line block ×3, first 2 shown]
	v_mul_f16_sdwa v50, v34, v42 dst_sel:DWORD dst_unused:UNUSED_PAD src0_sel:WORD_1 src1_sel:DWORD
	v_mul_f16_sdwa v51, v34, v12 dst_sel:DWORD dst_unused:UNUSED_PAD src0_sel:WORD_1 src1_sel:DWORD
	;; [unrolled: 1-line block ×6, first 2 shown]
	v_sub_f16_e32 v13, v16, v13
	v_sub_f16_e32 v20, v37, v20
	;; [unrolled: 1-line block ×4, first 2 shown]
	v_fma_f16 v12, v34, v12, v50
	v_fma_f16 v23, v34, v42, -v51
	v_fma_f16 v14, v35, v14, v52
	v_fma_f16 v34, v35, v43, -v53
	;; [unrolled: 2-line block ×3, first 2 shown]
	v_fma_f16 v16, v16, 2.0, -v13
	v_fma_f16 v36, v37, 2.0, -v20
	;; [unrolled: 1-line block ×4, first 2 shown]
	v_sub_f16_e32 v14, v10, v14
	v_sub_f16_e32 v34, v38, v34
	;; [unrolled: 1-line block ×4, first 2 shown]
	v_add_f16_e32 v21, v13, v21
	v_sub_f16_e32 v15, v20, v15
	v_sub_f16_e32 v11, v16, v11
	v_sub_f16_e32 v19, v36, v19
	v_fma_f16 v10, v10, 2.0, -v14
	v_fma_f16 v37, v38, 2.0, -v34
	;; [unrolled: 1-line block ×6, first 2 shown]
	v_pack_b32_f16 v15, v21, v15
	v_fma_f16 v16, v16, 2.0, -v11
	v_fma_f16 v21, v36, 2.0, -v19
	v_add_f16_e32 v35, v14, v35
	v_sub_f16_e32 v17, v34, v17
	v_sub_f16_e32 v12, v10, v12
	;; [unrolled: 1-line block ×3, first 2 shown]
	v_pack_b32_f16 v13, v13, v20
	v_pack_b32_f16 v11, v11, v19
	;; [unrolled: 1-line block ×3, first 2 shown]
	v_fma_f16 v14, v14, 2.0, -v35
	v_fma_f16 v34, v34, 2.0, -v17
	;; [unrolled: 1-line block ×4, first 2 shown]
	ds_write2_b32 v22, v16, v13 offset1:17
	ds_write2_b32 v22, v11, v15 offset0:34 offset1:51
	v_mad_u32_u24 v11, v32, s7, 0
	v_lshlrev_b32_sdwa v13, v18, v30 dst_sel:DWORD dst_unused:UNUSED_PAD src0_sel:DWORD src1_sel:BYTE_0
	v_add3_u32 v11, v11, v13, v27
	v_pack_b32_f16 v10, v10, v36
	v_pack_b32_f16 v13, v14, v34
	ds_write2_b32 v11, v10, v13 offset1:17
	v_pack_b32_f16 v10, v12, v23
	v_pack_b32_f16 v12, v35, v17
	ds_write2_b32 v11, v10, v12 offset0:34 offset1:51
	s_and_saveexec_b64 s[4:5], s[0:1]
	s_cbranch_execz .LBB0_18
; %bb.17:
	v_add_u16_e32 v10, 0x88, v5
	v_mul_lo_u16_sdwa v11, v10, s6 dst_sel:DWORD dst_unused:UNUSED_PAD src0_sel:BYTE_0 src1_sel:DWORD
	v_lshrrev_b16_e32 v13, 12, v11
	v_mul_lo_u16_e32 v11, 17, v13
	v_sub_u16_e32 v14, v10, v11
	v_mul_u32_u24_sdwa v8, v14, v8 dst_sel:DWORD dst_unused:UNUSED_PAD src0_sel:BYTE_0 src1_sel:DWORD
	v_lshlrev_b32_e32 v8, 2, v8
	global_load_dwordx3 v[10:12], v8, s[12:13]
	v_mad_u32_u24 v13, v13, s7, 0
	v_lshlrev_b32_sdwa v14, v18, v14 dst_sel:DWORD dst_unused:UNUSED_PAD src0_sel:DWORD src1_sel:BYTE_0
	v_add3_u32 v13, v13, v14, v27
	v_lshrrev_b32_e32 v8, 16, v29
	s_waitcnt vmcnt(0)
	v_mul_f16_sdwa v14, v29, v11 dst_sel:DWORD dst_unused:UNUSED_PAD src0_sel:DWORD src1_sel:WORD_1
	v_mul_f16_sdwa v15, v9, v10 dst_sel:DWORD dst_unused:UNUSED_PAD src0_sel:DWORD src1_sel:WORD_1
	;; [unrolled: 1-line block ×6, first 2 shown]
	v_fma_f16 v6, v6, v11, v14
	v_fma_f16 v14, v33, v10, -v15
	v_fma_f16 v15, v28, v12, -v16
	;; [unrolled: 1-line block ×3, first 2 shown]
	v_fma_f16 v9, v9, v10, v18
	v_fma_f16 v7, v7, v12, v19
	v_sub_f16_e32 v6, v8, v6
	v_sub_f16_e32 v10, v14, v15
	;; [unrolled: 1-line block ×4, first 2 shown]
	v_add_f16_e32 v12, v6, v10
	v_sub_f16_e32 v15, v11, v7
	v_fma_f16 v8, v8, 2.0, -v6
	v_fma_f16 v7, v9, 2.0, -v7
	;; [unrolled: 1-line block ×4, first 2 shown]
	v_sub_f16_e32 v7, v8, v7
	v_sub_f16_e32 v10, v9, v10
	v_fma_f16 v6, v6, 2.0, -v12
	v_fma_f16 v11, v11, 2.0, -v15
	;; [unrolled: 1-line block ×4, first 2 shown]
	v_pack_b32_f16 v6, v6, v11
	v_pack_b32_f16 v8, v8, v9
	;; [unrolled: 1-line block ×4, first 2 shown]
	ds_write2_b32 v13, v8, v6 offset1:17
	ds_write2_b32 v13, v7, v12 offset0:34 offset1:51
.LBB0_18:
	s_or_b64 exec, exec, s[4:5]
	v_mul_u32_u24_e32 v6, 9, v5
	v_lshlrev_b32_e32 v14, 2, v6
	s_waitcnt lgkmcnt(0)
	s_barrier
	global_load_dwordx4 v[6:9], v14, s[12:13] offset:204
	global_load_dwordx4 v[10:13], v14, s[12:13] offset:220
	global_load_dword v22, v14, s[12:13] offset:236
	v_add_u32_e32 v16, 0x200, v26
	v_add_u32_e32 v20, 0x600, v26
	ds_read2_b32 v[14:15], v26 offset0:68 offset1:136
	v_add_u32_e32 v23, 0x400, v26
	ds_read_b32 v27, v24
	ds_read_b32 v28, v26 offset:2448
	ds_read2_b32 v[16:17], v16 offset0:76 offset1:144
	ds_read2_b32 v[18:19], v23 offset0:84 offset1:152
	;; [unrolled: 1-line block ×3, first 2 shown]
	s_mov_b32 s0, 0xbb9c
	s_waitcnt lgkmcnt(5)
	v_lshrrev_b32_e32 v31, 16, v14
	s_waitcnt lgkmcnt(2)
	v_lshrrev_b32_e32 v37, 16, v17
	;; [unrolled: 2-line block ×3, first 2 shown]
	v_lshrrev_b32_e32 v32, 16, v15
	s_waitcnt lgkmcnt(0)
	v_lshrrev_b32_e32 v35, 16, v21
	v_lshrrev_b32_e32 v34, 16, v20
	;; [unrolled: 1-line block ×4, first 2 shown]
	s_movk_i32 s5, 0x3b9c
	s_mov_b32 s1, 0xb8b4
	s_movk_i32 s6, 0x38b4
	v_lshrrev_b32_e32 v29, 16, v27
	s_movk_i32 s4, 0x34f2
	v_lshrrev_b32_e32 v38, 16, v18
	s_waitcnt vmcnt(0)
	s_barrier
	v_mul_f16_sdwa v45, v9, v37 dst_sel:DWORD dst_unused:UNUSED_PAD src0_sel:WORD_1 src1_sel:DWORD
	v_mul_f16_sdwa v49, v33, v11 dst_sel:DWORD dst_unused:UNUSED_PAD src0_sel:DWORD src1_sel:WORD_1
	v_mul_f16_sdwa v39, v6, v31 dst_sel:DWORD dst_unused:UNUSED_PAD src0_sel:WORD_1 src1_sel:DWORD
	v_mul_f16_sdwa v40, v6, v14 dst_sel:DWORD dst_unused:UNUSED_PAD src0_sel:WORD_1 src1_sel:DWORD
	;; [unrolled: 1-line block ×5, first 2 shown]
	v_mul_f16_sdwa v50, v19, v11 dst_sel:DWORD dst_unused:UNUSED_PAD src0_sel:DWORD src1_sel:WORD_1
	v_mul_f16_sdwa v53, v35, v13 dst_sel:DWORD dst_unused:UNUSED_PAD src0_sel:DWORD src1_sel:WORD_1
	;; [unrolled: 1-line block ×3, first 2 shown]
	v_fma_f16 v17, v9, v17, v45
	v_fma_f16 v19, v19, v11, v49
	v_mul_f16_sdwa v43, v8, v36 dst_sel:DWORD dst_unused:UNUSED_PAD src0_sel:WORD_1 src1_sel:DWORD
	v_mul_f16_sdwa v44, v8, v16 dst_sel:DWORD dst_unused:UNUSED_PAD src0_sel:WORD_1 src1_sel:DWORD
	v_mul_f16_sdwa v51, v34, v12 dst_sel:DWORD dst_unused:UNUSED_PAD src0_sel:DWORD src1_sel:WORD_1
	v_mul_f16_sdwa v52, v20, v12 dst_sel:DWORD dst_unused:UNUSED_PAD src0_sel:DWORD src1_sel:WORD_1
	v_fma_f16 v14, v6, v14, v39
	v_fma_f16 v6, v6, v31, -v40
	v_fma_f16 v15, v7, v15, v41
	v_fma_f16 v7, v7, v32, -v42
	;; [unrolled: 2-line block ×3, first 2 shown]
	v_add_f16_e32 v31, v17, v19
	v_mul_f16_sdwa v55, v30, v22 dst_sel:DWORD dst_unused:UNUSED_PAD src0_sel:DWORD src1_sel:WORD_1
	v_mul_f16_sdwa v56, v28, v22 dst_sel:DWORD dst_unused:UNUSED_PAD src0_sel:DWORD src1_sel:WORD_1
	v_fma_f16 v16, v8, v16, v43
	v_fma_f16 v8, v8, v36, -v44
	v_fma_f16 v9, v9, v37, -v46
	;; [unrolled: 1-line block ×3, first 2 shown]
	v_fma_f16 v20, v20, v12, v51
	v_fma_f16 v12, v34, v12, -v52
	v_sub_f16_e32 v32, v7, v13
	v_sub_f16_e32 v34, v15, v17
	;; [unrolled: 1-line block ×3, first 2 shown]
	v_add_f16_e32 v36, v15, v21
	v_fma_f16 v31, v31, -0.5, v27
	v_fma_f16 v28, v28, v22, v55
	v_fma_f16 v22, v30, v22, -v56
	v_add_f16_e32 v30, v27, v15
	v_sub_f16_e32 v33, v9, v11
	v_add_f16_e32 v34, v34, v35
	v_fma_f16 v27, v36, -0.5, v27
	v_fma_f16 v35, v32, s0, v31
	v_fma_f16 v31, v32, s5, v31
	v_add_f16_e32 v30, v30, v17
	v_fma_f16 v36, v33, s5, v27
	v_fma_f16 v35, v33, s1, v35
	;; [unrolled: 1-line block ×4, first 2 shown]
	v_add_f16_e32 v33, v9, v11
	v_add_f16_e32 v30, v30, v19
	v_fma_f16 v35, v34, s4, v35
	v_fma_f16 v31, v34, s4, v31
	v_sub_f16_e32 v34, v17, v15
	v_sub_f16_e32 v37, v19, v21
	v_fma_f16 v33, v33, -0.5, v29
	v_sub_f16_e32 v15, v15, v21
	v_add_f16_e32 v30, v30, v21
	v_fma_f16 v36, v32, s1, v36
	v_add_f16_e32 v34, v34, v37
	v_fma_f16 v27, v32, s6, v27
	v_fma_f16 v21, v15, s5, v33
	v_sub_f16_e32 v17, v17, v19
	v_fma_f16 v36, v34, s4, v36
	v_fma_f16 v27, v34, s4, v27
	;; [unrolled: 1-line block ×3, first 2 shown]
	v_sub_f16_e32 v21, v7, v9
	v_sub_f16_e32 v34, v13, v11
	v_fma_f16 v33, v15, s0, v33
	v_add_f16_e32 v32, v29, v7
	v_add_f16_e32 v21, v21, v34
	v_fma_f16 v33, v17, s1, v33
	v_mul_f16_sdwa v47, v10, v38 dst_sel:DWORD dst_unused:UNUSED_PAD src0_sel:WORD_1 src1_sel:DWORD
	v_add_f16_e32 v32, v32, v9
	v_fma_f16 v19, v21, s4, v19
	v_fma_f16 v21, v21, s4, v33
	v_add_f16_e32 v33, v7, v13
	v_mul_f16_sdwa v48, v10, v18 dst_sel:DWORD dst_unused:UNUSED_PAD src0_sel:WORD_1 src1_sel:DWORD
	v_fma_f16 v18, v10, v18, v47
	v_add_f16_e32 v32, v32, v11
	v_fma_f16 v29, v33, -0.5, v29
	v_add_f16_e32 v32, v32, v13
	v_fma_f16 v33, v17, s0, v29
	v_sub_f16_e32 v7, v9, v7
	v_sub_f16_e32 v9, v11, v13
	v_fma_f16 v11, v17, s5, v29
	v_add_f16_e32 v13, v18, v20
	v_fma_f16 v10, v10, v38, -v48
	v_fma_f16 v33, v15, s6, v33
	v_add_f16_e32 v7, v7, v9
	v_fma_f16 v11, v15, s1, v11
	v_fma_f16 v13, v13, -0.5, v14
	v_sub_f16_e32 v15, v8, v22
	v_fma_f16 v9, v7, s4, v33
	v_fma_f16 v17, v15, s0, v13
	v_sub_f16_e32 v29, v10, v12
	v_sub_f16_e32 v33, v16, v18
	;; [unrolled: 1-line block ×3, first 2 shown]
	v_fma_f16 v13, v15, s5, v13
	v_fma_f16 v17, v29, s1, v17
	v_add_f16_e32 v33, v33, v34
	v_fma_f16 v13, v29, s6, v13
	v_fma_f16 v17, v33, s4, v17
	;; [unrolled: 1-line block ×3, first 2 shown]
	v_add_f16_e32 v33, v16, v28
	v_fma_f16 v7, v7, s4, v11
	v_add_f16_e32 v11, v14, v16
	v_fma_f16 v14, v33, -0.5, v14
	v_add_f16_e32 v11, v11, v18
	v_fma_f16 v33, v29, s5, v14
	v_fma_f16 v14, v29, s0, v14
	v_add_f16_e32 v29, v10, v12
	v_add_f16_e32 v11, v11, v20
	v_sub_f16_e32 v34, v18, v16
	v_sub_f16_e32 v37, v20, v28
	v_fma_f16 v29, v29, -0.5, v6
	v_sub_f16_e32 v16, v16, v28
	v_add_f16_e32 v11, v11, v28
	v_fma_f16 v33, v15, s1, v33
	v_add_f16_e32 v34, v34, v37
	v_fma_f16 v14, v15, s6, v14
	v_fma_f16 v28, v16, s5, v29
	v_sub_f16_e32 v18, v18, v20
	v_fma_f16 v33, v34, s4, v33
	v_fma_f16 v14, v34, s4, v14
	;; [unrolled: 1-line block ×3, first 2 shown]
	v_sub_f16_e32 v28, v8, v10
	v_sub_f16_e32 v34, v22, v12
	v_fma_f16 v29, v16, s0, v29
	v_add_f16_e32 v28, v28, v34
	v_fma_f16 v29, v18, s1, v29
	v_fma_f16 v20, v28, s4, v20
	;; [unrolled: 1-line block ×3, first 2 shown]
	v_add_f16_e32 v29, v8, v22
	v_add_f16_e32 v15, v6, v8
	v_fma_f16 v6, v29, -0.5, v6
	v_add_f16_e32 v15, v15, v10
	v_fma_f16 v29, v18, s0, v6
	v_sub_f16_e32 v8, v10, v8
	v_sub_f16_e32 v10, v12, v22
	v_fma_f16 v6, v18, s5, v6
	v_fma_f16 v29, v16, s6, v29
	v_add_f16_e32 v8, v8, v10
	v_fma_f16 v6, v16, s1, v6
	v_add_f16_e32 v15, v15, v12
	v_fma_f16 v10, v8, s4, v29
	v_fma_f16 v6, v8, s4, v6
	v_mul_f16_e32 v12, 0xb8b4, v20
	s_movk_i32 s0, 0x3a79
	v_mul_f16_e32 v20, 0x3a79, v20
	v_add_f16_e32 v15, v15, v22
	v_fma_f16 v12, v17, s0, v12
	v_mul_f16_e32 v18, 0xbb9c, v10
	v_mul_f16_e32 v29, 0xbb9c, v6
	s_mov_b32 s0, 0xb4f2
	v_fma_f16 v17, v17, s6, v20
	v_mul_f16_e32 v10, 0x34f2, v10
	v_mul_f16_e32 v6, 0xb4f2, v6
	v_add_f16_e32 v8, v30, v11
	v_add_f16_e32 v16, v35, v12
	v_fma_f16 v18, v33, s4, v18
	v_fma_f16 v29, v14, s0, v29
	v_mul_f16_e32 v37, 0xb8b4, v28
	s_mov_b32 s0, 0xba79
	v_add_f16_e32 v39, v32, v15
	v_add_f16_e32 v20, v19, v17
	v_fma_f16 v10, v33, s5, v10
	v_fma_f16 v6, v14, s5, v6
	v_mul_f16_e32 v28, 0xba79, v28
	v_add_f16_e32 v22, v36, v18
	v_add_f16_e32 v34, v27, v29
	v_fma_f16 v37, v13, s0, v37
	v_add_f16_e32 v33, v9, v10
	v_add_f16_e32 v14, v7, v6
	v_fma_f16 v13, v13, s6, v28
	v_sub_f16_e32 v9, v9, v10
	v_pack_b32_f16 v8, v8, v39
	v_pack_b32_f16 v10, v16, v20
	v_add_f16_e32 v38, v31, v37
	v_add_f16_e32 v28, v21, v13
	v_sub_f16_e32 v11, v30, v11
	v_sub_f16_e32 v15, v32, v15
	ds_write2_b32 v26, v8, v10 offset1:68
	v_pack_b32_f16 v8, v22, v33
	v_pack_b32_f16 v10, v34, v14
	v_sub_f16_e32 v12, v35, v12
	v_sub_f16_e32 v18, v36, v18
	v_sub_f16_e32 v17, v19, v17
	ds_write2_b32 v26, v8, v10 offset0:136 offset1:204
	v_pack_b32_f16 v8, v38, v28
	v_pack_b32_f16 v10, v11, v15
	v_sub_f16_e32 v27, v27, v29
	v_sub_f16_e32 v29, v31, v37
	;; [unrolled: 1-line block ×4, first 2 shown]
	ds_write2_b32 v23, v8, v10 offset0:16 offset1:84
	v_pack_b32_f16 v8, v12, v17
	v_pack_b32_f16 v9, v18, v9
	ds_write2_b32 v23, v8, v9 offset0:152 offset1:220
	v_pack_b32_f16 v6, v27, v6
	v_pack_b32_f16 v7, v29, v7
	v_add_u32_e32 v8, 0x800, v26
	ds_write2_b32 v8, v6, v7 offset0:32 offset1:100
	s_waitcnt lgkmcnt(0)
	s_barrier
	ds_read_b32 v12, v24
	v_sub_u32_e32 v8, v0, v25
	v_cmp_ne_u32_e64 s[0:1], 0, v5
                                        ; implicit-def: $vgpr10
                                        ; implicit-def: $vgpr9
                                        ; implicit-def: $vgpr11
                                        ; implicit-def: $vgpr6_vgpr7
	s_and_saveexec_b64 s[4:5], s[0:1]
	s_xor_b64 s[4:5], exec, s[4:5]
	s_cbranch_execz .LBB0_20
; %bb.19:
	v_mov_b32_e32 v6, 0
	v_lshlrev_b64 v[9:10], 2, v[5:6]
	v_mov_b32_e32 v7, s13
	v_add_co_u32_e64 v9, s[0:1], s12, v9
	v_addc_co_u32_e64 v10, s[0:1], v7, v10, s[0:1]
	global_load_dword v7, v[9:10], off offset:2652
	ds_read_b32 v9, v8 offset:2720
	s_mov_b32 s0, 0xffff
	s_waitcnt lgkmcnt(0)
	v_pk_add_f16 v10, v12, v9 neg_lo:[0,1] neg_hi:[0,1]
	v_pk_add_f16 v9, v9, v12
	v_bfi_b32 v11, s0, v10, v9
	v_bfi_b32 v9, s0, v9, v10
	v_pk_mul_f16 v10, v11, 0.5 op_sel_hi:[1,0]
	v_pk_mul_f16 v11, v9, 0.5 op_sel_hi:[1,0]
	s_waitcnt vmcnt(0)
	v_pk_mul_f16 v12, v7, v10 op_sel:[1,0]
	v_pk_mul_f16 v7, v7, v10 op_sel_hi:[0,1]
	v_pk_fma_f16 v9, v9, 0.5, v12 op_sel_hi:[1,0,1]
	v_sub_f16_e32 v10, v11, v12
	v_sub_f16_sdwa v11, v12, v11 dst_sel:DWORD dst_unused:UNUSED_PAD src0_sel:WORD_1 src1_sel:WORD_1
	v_pk_add_f16 v12, v9, v7 op_sel:[0,1] op_sel_hi:[1,0]
	v_pk_add_f16 v13, v9, v7 op_sel:[0,1] op_sel_hi:[1,0] neg_lo:[0,1] neg_hi:[0,1]
	v_sub_f16_sdwa v9, v10, v7 dst_sel:DWORD dst_unused:UNUSED_PAD src0_sel:DWORD src1_sel:WORD_1
	v_sub_f16_e32 v11, v11, v7
	v_mov_b32_e32 v7, v6
	v_bfi_b32 v10, s0, v12, v13
	v_mov_b32_e32 v6, v5
                                        ; implicit-def: $vgpr12
.LBB0_20:
	s_andn2_saveexec_b64 s[0:1], s[4:5]
	s_cbranch_execz .LBB0_22
; %bb.21:
	ds_read_u16 v6, v0 offset:1362
	s_waitcnt lgkmcnt(1)
	v_alignbit_b32 v7, s0, v12, 16
	v_pk_add_f16 v7, v7, v12
	v_pack_b32_f16 v10, v7, 0
	v_sub_f16_sdwa v9, v12, v12 dst_sel:DWORD dst_unused:UNUSED_PAD src0_sel:DWORD src1_sel:WORD_1
	s_waitcnt lgkmcnt(0)
	v_xor_b32_e32 v6, 0x8000, v6
	ds_write_b16 v0, v6 offset:1362
	v_mov_b32_e32 v6, 0
	v_mov_b32_e32 v7, 0
	;; [unrolled: 1-line block ×3, first 2 shown]
.LBB0_22:
	s_or_b64 exec, exec, s[0:1]
	s_add_u32 s0, s12, 0xa5c
	v_lshlrev_b64 v[6:7], 2, v[6:7]
	s_addc_u32 s1, s13, 0
	s_waitcnt lgkmcnt(0)
	v_mov_b32_e32 v12, s1
	v_add_co_u32_e64 v6, s[0:1], s0, v6
	v_addc_co_u32_e64 v7, s[0:1], v12, v7, s[0:1]
	global_load_dword v12, v[6:7], off offset:272
	global_load_dword v13, v[6:7], off offset:544
	global_load_dword v14, v[6:7], off offset:816
	ds_write_b16 v8, v11 offset:2722
	ds_write_b32 v24, v10
	ds_write_b16 v8, v9 offset:2720
	ds_read_b32 v9, v24 offset:272
	ds_read_b32 v10, v8 offset:2448
	global_load_dword v6, v[6:7], off offset:1088
	s_mov_b32 s0, 0xffff
	s_waitcnt lgkmcnt(0)
	v_pk_add_f16 v7, v9, v10 neg_lo:[0,1] neg_hi:[0,1]
	v_pk_add_f16 v9, v9, v10
	v_bfi_b32 v10, s0, v7, v9
	v_bfi_b32 v7, s0, v9, v7
	v_pk_mul_f16 v9, v10, 0.5 op_sel_hi:[1,0]
	v_pk_mul_f16 v7, v7, 0.5 op_sel_hi:[1,0]
	s_waitcnt vmcnt(3)
	v_pk_fma_f16 v10, v12, v9, v7 op_sel:[1,0,0]
	v_pk_mul_f16 v11, v12, v9 op_sel_hi:[0,1]
	v_pk_fma_f16 v15, v12, v9, v7 op_sel:[1,0,0] neg_lo:[1,0,0] neg_hi:[1,0,0]
	v_pk_fma_f16 v7, v12, v9, v7 op_sel:[1,0,0] neg_lo:[0,0,1] neg_hi:[0,0,1]
	v_pk_add_f16 v9, v10, v11 op_sel:[0,1] op_sel_hi:[1,0]
	v_pk_add_f16 v10, v10, v11 op_sel:[0,1] op_sel_hi:[1,0] neg_lo:[0,1] neg_hi:[0,1]
	v_pk_add_f16 v12, v15, v11 op_sel:[0,1] op_sel_hi:[1,0] neg_lo:[0,1] neg_hi:[0,1]
	v_pk_add_f16 v7, v7, v11 op_sel:[0,1] op_sel_hi:[1,0] neg_lo:[0,1] neg_hi:[0,1]
	v_bfi_b32 v9, s0, v9, v10
	v_bfi_b32 v7, s0, v12, v7
	ds_write_b32 v24, v9 offset:272
	ds_write_b32 v8, v7 offset:2448
	ds_read_b32 v7, v24 offset:544
	ds_read_b32 v9, v8 offset:2176
	s_waitcnt lgkmcnt(0)
	v_pk_add_f16 v10, v7, v9 neg_lo:[0,1] neg_hi:[0,1]
	v_pk_add_f16 v7, v7, v9
	v_bfi_b32 v9, s0, v10, v7
	v_bfi_b32 v7, s0, v7, v10
	v_pk_mul_f16 v9, v9, 0.5 op_sel_hi:[1,0]
	v_pk_mul_f16 v7, v7, 0.5 op_sel_hi:[1,0]
	s_waitcnt vmcnt(2)
	v_pk_fma_f16 v10, v13, v9, v7 op_sel:[1,0,0]
	v_pk_mul_f16 v11, v13, v9 op_sel_hi:[0,1]
	v_pk_fma_f16 v12, v13, v9, v7 op_sel:[1,0,0] neg_lo:[1,0,0] neg_hi:[1,0,0]
	v_pk_fma_f16 v7, v13, v9, v7 op_sel:[1,0,0] neg_lo:[0,0,1] neg_hi:[0,0,1]
	v_pk_add_f16 v9, v10, v11 op_sel:[0,1] op_sel_hi:[1,0]
	v_pk_add_f16 v10, v10, v11 op_sel:[0,1] op_sel_hi:[1,0] neg_lo:[0,1] neg_hi:[0,1]
	v_pk_add_f16 v12, v12, v11 op_sel:[0,1] op_sel_hi:[1,0] neg_lo:[0,1] neg_hi:[0,1]
	v_pk_add_f16 v7, v7, v11 op_sel:[0,1] op_sel_hi:[1,0] neg_lo:[0,1] neg_hi:[0,1]
	v_bfi_b32 v9, s0, v9, v10
	v_bfi_b32 v7, s0, v12, v7
	ds_write_b32 v24, v9 offset:544
	ds_write_b32 v8, v7 offset:2176
	ds_read_b32 v7, v24 offset:816
	ds_read_b32 v9, v8 offset:1904
	;; [unrolled: 22-line block ×3, first 2 shown]
	s_waitcnt lgkmcnt(0)
	v_pk_add_f16 v10, v7, v9 neg_lo:[0,1] neg_hi:[0,1]
	v_pk_add_f16 v7, v7, v9
	v_bfi_b32 v9, s0, v10, v7
	v_bfi_b32 v7, s0, v7, v10
	v_pk_mul_f16 v9, v9, 0.5 op_sel_hi:[1,0]
	v_pk_mul_f16 v7, v7, 0.5 op_sel_hi:[1,0]
	s_waitcnt vmcnt(0)
	v_pk_fma_f16 v10, v6, v9, v7 op_sel:[1,0,0]
	v_pk_mul_f16 v11, v6, v9 op_sel_hi:[0,1]
	v_pk_fma_f16 v12, v6, v9, v7 op_sel:[1,0,0] neg_lo:[1,0,0] neg_hi:[1,0,0]
	v_pk_fma_f16 v6, v6, v9, v7 op_sel:[1,0,0] neg_lo:[0,0,1] neg_hi:[0,0,1]
	v_pk_add_f16 v7, v10, v11 op_sel:[0,1] op_sel_hi:[1,0]
	v_pk_add_f16 v9, v10, v11 op_sel:[0,1] op_sel_hi:[1,0] neg_lo:[0,1] neg_hi:[0,1]
	v_pk_add_f16 v10, v12, v11 op_sel:[0,1] op_sel_hi:[1,0] neg_lo:[0,1] neg_hi:[0,1]
	;; [unrolled: 1-line block ×3, first 2 shown]
	v_bfi_b32 v7, s0, v7, v9
	v_bfi_b32 v6, s0, v10, v6
	ds_write_b32 v24, v7 offset:1088
	ds_write_b32 v8, v6 offset:1632
	s_waitcnt lgkmcnt(0)
	s_barrier
	s_and_saveexec_b64 s[0:1], vcc
	s_cbranch_execz .LBB0_25
; %bb.23:
	v_mul_lo_u32 v6, s3, v3
	v_mul_lo_u32 v4, s2, v4
	v_mad_u64_u32 v[7:8], s[0:1], s2, v3, 0
	v_lshl_add_u32 v3, v5, 2, v0
	v_mov_b32_e32 v0, s11
	v_add3_u32 v8, v8, v4, v6
	v_lshlrev_b64 v[7:8], 2, v[7:8]
	v_mov_b32_e32 v6, 0
	v_add_co_u32_e32 v4, vcc, s10, v7
	v_addc_co_u32_e32 v7, vcc, v0, v8, vcc
	v_lshlrev_b64 v[0:1], 2, v[1:2]
	ds_read2_b32 v[9:10], v3 offset1:68
	v_add_co_u32_e32 v0, vcc, v4, v0
	v_addc_co_u32_e32 v1, vcc, v7, v1, vcc
	v_lshlrev_b64 v[7:8], 2, v[5:6]
	v_add_u32_e32 v2, 0x400, v3
	v_add_co_u32_e32 v7, vcc, v0, v7
	v_addc_co_u32_e32 v8, vcc, v1, v8, vcc
	s_waitcnt lgkmcnt(0)
	global_store_dword v[7:8], v9, off
	v_add_u32_e32 v7, 0x44, v5
	v_mov_b32_e32 v8, v6
	v_lshlrev_b64 v[7:8], 2, v[7:8]
	s_movk_i32 s0, 0x43
	v_add_co_u32_e32 v7, vcc, v0, v7
	v_addc_co_u32_e32 v8, vcc, v1, v8, vcc
	global_store_dword v[7:8], v10, off
	v_add_u32_e32 v7, 0x88, v5
	v_mov_b32_e32 v8, v6
	ds_read2_b32 v[9:10], v3 offset0:136 offset1:204
	v_lshlrev_b64 v[7:8], 2, v[7:8]
	v_add_co_u32_e32 v7, vcc, v0, v7
	v_addc_co_u32_e32 v8, vcc, v1, v8, vcc
	s_waitcnt lgkmcnt(0)
	global_store_dword v[7:8], v9, off
	v_add_u32_e32 v7, 0xcc, v5
	v_mov_b32_e32 v8, v6
	v_lshlrev_b64 v[7:8], 2, v[7:8]
	v_add_co_u32_e32 v7, vcc, v0, v7
	v_addc_co_u32_e32 v8, vcc, v1, v8, vcc
	global_store_dword v[7:8], v10, off
	v_add_u32_e32 v7, 0x110, v5
	v_mov_b32_e32 v8, v6
	ds_read2_b32 v[9:10], v2 offset0:16 offset1:84
	v_lshlrev_b64 v[7:8], 2, v[7:8]
	v_add_co_u32_e32 v7, vcc, v0, v7
	v_addc_co_u32_e32 v8, vcc, v1, v8, vcc
	s_waitcnt lgkmcnt(0)
	global_store_dword v[7:8], v9, off
	v_add_u32_e32 v7, 0x154, v5
	v_mov_b32_e32 v8, v6
	v_lshlrev_b64 v[7:8], 2, v[7:8]
	v_add_co_u32_e32 v7, vcc, v0, v7
	v_addc_co_u32_e32 v8, vcc, v1, v8, vcc
	global_store_dword v[7:8], v10, off
	v_add_u32_e32 v7, 0x198, v5
	v_mov_b32_e32 v8, v6
	ds_read2_b32 v[9:10], v2 offset0:152 offset1:220
	v_lshlrev_b64 v[7:8], 2, v[7:8]
	v_add_u32_e32 v2, 0x800, v3
	v_add_co_u32_e32 v7, vcc, v0, v7
	v_addc_co_u32_e32 v8, vcc, v1, v8, vcc
	s_waitcnt lgkmcnt(0)
	global_store_dword v[7:8], v9, off
	v_add_u32_e32 v7, 0x1dc, v5
	v_mov_b32_e32 v8, v6
	v_lshlrev_b64 v[7:8], 2, v[7:8]
	v_add_co_u32_e32 v7, vcc, v0, v7
	v_addc_co_u32_e32 v8, vcc, v1, v8, vcc
	global_store_dword v[7:8], v10, off
	v_add_u32_e32 v7, 0x220, v5
	v_mov_b32_e32 v8, v6
	ds_read2_b32 v[9:10], v2 offset0:32 offset1:100
	v_lshlrev_b64 v[7:8], 2, v[7:8]
	v_add_co_u32_e32 v7, vcc, v0, v7
	v_addc_co_u32_e32 v8, vcc, v1, v8, vcc
	s_waitcnt lgkmcnt(0)
	global_store_dword v[7:8], v9, off
	v_add_u32_e32 v7, 0x264, v5
	v_mov_b32_e32 v8, v6
	v_lshlrev_b64 v[6:7], 2, v[7:8]
	v_add_co_u32_e32 v6, vcc, v0, v6
	v_addc_co_u32_e32 v7, vcc, v1, v7, vcc
	v_cmp_eq_u32_e32 vcc, s0, v5
	global_store_dword v[6:7], v10, off
	s_and_b64 exec, exec, vcc
	s_cbranch_execz .LBB0_25
; %bb.24:
	ds_read_b32 v2, v3 offset:2452
	s_waitcnt lgkmcnt(0)
	global_store_dword v[0:1], v2, off offset:2720
.LBB0_25:
	s_endpgm
	.section	.rodata,"a",@progbits
	.p2align	6, 0x0
	.amdhsa_kernel fft_rtc_back_len680_factors_17_4_10_wgs_204_tpt_68_halfLds_half_op_CI_CI_unitstride_sbrr_R2C_dirReg
		.amdhsa_group_segment_fixed_size 0
		.amdhsa_private_segment_fixed_size 0
		.amdhsa_kernarg_size 104
		.amdhsa_user_sgpr_count 6
		.amdhsa_user_sgpr_private_segment_buffer 1
		.amdhsa_user_sgpr_dispatch_ptr 0
		.amdhsa_user_sgpr_queue_ptr 0
		.amdhsa_user_sgpr_kernarg_segment_ptr 1
		.amdhsa_user_sgpr_dispatch_id 0
		.amdhsa_user_sgpr_flat_scratch_init 0
		.amdhsa_user_sgpr_private_segment_size 0
		.amdhsa_uses_dynamic_stack 0
		.amdhsa_system_sgpr_private_segment_wavefront_offset 0
		.amdhsa_system_sgpr_workgroup_id_x 1
		.amdhsa_system_sgpr_workgroup_id_y 0
		.amdhsa_system_sgpr_workgroup_id_z 0
		.amdhsa_system_sgpr_workgroup_info 0
		.amdhsa_system_vgpr_workitem_id 0
		.amdhsa_next_free_vgpr 142
		.amdhsa_next_free_sgpr 37
		.amdhsa_reserve_vcc 1
		.amdhsa_reserve_flat_scratch 0
		.amdhsa_float_round_mode_32 0
		.amdhsa_float_round_mode_16_64 0
		.amdhsa_float_denorm_mode_32 3
		.amdhsa_float_denorm_mode_16_64 3
		.amdhsa_dx10_clamp 1
		.amdhsa_ieee_mode 1
		.amdhsa_fp16_overflow 0
		.amdhsa_exception_fp_ieee_invalid_op 0
		.amdhsa_exception_fp_denorm_src 0
		.amdhsa_exception_fp_ieee_div_zero 0
		.amdhsa_exception_fp_ieee_overflow 0
		.amdhsa_exception_fp_ieee_underflow 0
		.amdhsa_exception_fp_ieee_inexact 0
		.amdhsa_exception_int_div_zero 0
	.end_amdhsa_kernel
	.text
.Lfunc_end0:
	.size	fft_rtc_back_len680_factors_17_4_10_wgs_204_tpt_68_halfLds_half_op_CI_CI_unitstride_sbrr_R2C_dirReg, .Lfunc_end0-fft_rtc_back_len680_factors_17_4_10_wgs_204_tpt_68_halfLds_half_op_CI_CI_unitstride_sbrr_R2C_dirReg
                                        ; -- End function
	.section	.AMDGPU.csdata,"",@progbits
; Kernel info:
; codeLenInByte = 11184
; NumSgprs: 41
; NumVgprs: 142
; ScratchSize: 0
; MemoryBound: 0
; FloatMode: 240
; IeeeMode: 1
; LDSByteSize: 0 bytes/workgroup (compile time only)
; SGPRBlocks: 5
; VGPRBlocks: 35
; NumSGPRsForWavesPerEU: 41
; NumVGPRsForWavesPerEU: 142
; Occupancy: 1
; WaveLimiterHint : 1
; COMPUTE_PGM_RSRC2:SCRATCH_EN: 0
; COMPUTE_PGM_RSRC2:USER_SGPR: 6
; COMPUTE_PGM_RSRC2:TRAP_HANDLER: 0
; COMPUTE_PGM_RSRC2:TGID_X_EN: 1
; COMPUTE_PGM_RSRC2:TGID_Y_EN: 0
; COMPUTE_PGM_RSRC2:TGID_Z_EN: 0
; COMPUTE_PGM_RSRC2:TIDIG_COMP_CNT: 0
	.type	__hip_cuid_2d0afa394dab8dc1,@object ; @__hip_cuid_2d0afa394dab8dc1
	.section	.bss,"aw",@nobits
	.globl	__hip_cuid_2d0afa394dab8dc1
__hip_cuid_2d0afa394dab8dc1:
	.byte	0                               ; 0x0
	.size	__hip_cuid_2d0afa394dab8dc1, 1

	.ident	"AMD clang version 19.0.0git (https://github.com/RadeonOpenCompute/llvm-project roc-6.4.0 25133 c7fe45cf4b819c5991fe208aaa96edf142730f1d)"
	.section	".note.GNU-stack","",@progbits
	.addrsig
	.addrsig_sym __hip_cuid_2d0afa394dab8dc1
	.amdgpu_metadata
---
amdhsa.kernels:
  - .args:
      - .actual_access:  read_only
        .address_space:  global
        .offset:         0
        .size:           8
        .value_kind:     global_buffer
      - .offset:         8
        .size:           8
        .value_kind:     by_value
      - .actual_access:  read_only
        .address_space:  global
        .offset:         16
        .size:           8
        .value_kind:     global_buffer
      - .actual_access:  read_only
        .address_space:  global
        .offset:         24
        .size:           8
        .value_kind:     global_buffer
      - .actual_access:  read_only
        .address_space:  global
        .offset:         32
        .size:           8
        .value_kind:     global_buffer
      - .offset:         40
        .size:           8
        .value_kind:     by_value
      - .actual_access:  read_only
        .address_space:  global
        .offset:         48
        .size:           8
        .value_kind:     global_buffer
      - .actual_access:  read_only
        .address_space:  global
        .offset:         56
        .size:           8
        .value_kind:     global_buffer
      - .offset:         64
        .size:           4
        .value_kind:     by_value
      - .actual_access:  read_only
        .address_space:  global
        .offset:         72
        .size:           8
        .value_kind:     global_buffer
      - .actual_access:  read_only
        .address_space:  global
        .offset:         80
        .size:           8
        .value_kind:     global_buffer
      - .actual_access:  read_only
        .address_space:  global
        .offset:         88
        .size:           8
        .value_kind:     global_buffer
      - .actual_access:  write_only
        .address_space:  global
        .offset:         96
        .size:           8
        .value_kind:     global_buffer
    .group_segment_fixed_size: 0
    .kernarg_segment_align: 8
    .kernarg_segment_size: 104
    .language:       OpenCL C
    .language_version:
      - 2
      - 0
    .max_flat_workgroup_size: 204
    .name:           fft_rtc_back_len680_factors_17_4_10_wgs_204_tpt_68_halfLds_half_op_CI_CI_unitstride_sbrr_R2C_dirReg
    .private_segment_fixed_size: 0
    .sgpr_count:     41
    .sgpr_spill_count: 0
    .symbol:         fft_rtc_back_len680_factors_17_4_10_wgs_204_tpt_68_halfLds_half_op_CI_CI_unitstride_sbrr_R2C_dirReg.kd
    .uniform_work_group_size: 1
    .uses_dynamic_stack: false
    .vgpr_count:     142
    .vgpr_spill_count: 0
    .wavefront_size: 64
amdhsa.target:   amdgcn-amd-amdhsa--gfx906
amdhsa.version:
  - 1
  - 2
...

	.end_amdgpu_metadata
